;; amdgpu-corpus repo=ROCm/aiter kind=harvested arch=n/a opt=n/a

/root/src/amdgpu-assembly/repos/ROCm__aiter/hsa/gfx950/fmoe_2stages/fmoe_stage1_bf16_pertokenFp8_doweight_g1u1_64x64_2tg_pf3.co:	file format elf64-amdgpu

Disassembly of section .text:

0000000000002a00 <_ZN5aiter56fmoe_stage1_bf16_pertokenFp8_doweight_g1u1_64x64_2tg_pf3E>:
	s_and_b32 s1, s1, 0xffff                                   // 000000002A00: 8601FF01 0000FFFF
	s_load_dwordx2 s[8:9], s[0:1], 0x0                         // 000000002A08: C0060200 00000000
	s_load_dwordx2 s[20:21], s[0:1], 0x10                      // 000000002A10: C0060500 00000010
	s_load_dwordx2 s[24:25], s[0:1], 0x20                      // 000000002A18: C0060600 00000020
	s_load_dwordx2 s[48:49], s[0:1], 0x30                      // 000000002A20: C0060C00 00000030
	s_load_dwordx2 s[28:29], s[0:1], 0x40                      // 000000002A28: C0060700 00000040
	s_load_dwordx2 s[32:33], s[0:1], 0x50                      // 000000002A30: C0060800 00000050
	s_load_dwordx2 s[36:37], s[0:1], 0x60                      // 000000002A38: C0060900 00000060
	s_load_dwordx2 s[12:13], s[0:1], 0x70                      // 000000002A40: C0060300 00000070
	s_load_dwordx2 s[44:45], s[0:1], 0x80                      // 000000002A48: C0060B00 00000080
	s_mov_b32 s89, 0                                           // 000000002A50: BED90080
	s_load_dword s64, s[0:1], 0x90                             // 000000002A54: C0021000 00000090
	s_load_dword s65, s[0:1], 0xa0                             // 000000002A5C: C0021040 000000A0
	s_load_dword s66, s[0:1], 0xb0                             // 000000002A64: C0021080 000000B0
	s_load_dword s67, s[0:1], 0xc0                             // 000000002A6C: C00210C0 000000C0
	s_load_dword s68, s[0:1], 0xd0                             // 000000002A74: C0021100 000000D0
	s_load_dword s69, s[0:1], 0xe0                             // 000000002A7C: C0021140 000000E0
	s_load_dword s71, s[0:1], 0xf0                             // 000000002A84: C00211C0 000000F0
	s_load_dword s72, s[0:1], 0x100                            // 000000002A8C: C0021200 00000100
	s_load_dword s74, s[0:1], 0x110                            // 000000002A94: C0021280 00000110
	s_load_dword s76, s[0:1], 0x120                            // 000000002A9C: C0021300 00000120
	s_load_dword s56, s[0:1], 0x130                            // 000000002AA4: C0020E00 00000130
	s_load_dword s88, s[0:1], 0x140                            // 000000002AAC: C0021600 00000140
	s_load_dword s89, s[0:1], 0x150                            // 000000002AB4: C0021640 00000150
	s_load_dwordx2 s[40:41], s[0:1], 0x160                     // 000000002ABC: C0060A00 00000160
	v_lshrrev_b32_e32 v1, 10, v0                               // 000000002AC4: 2002008A
	v_lshrrev_b32_e32 v2, 10, v1                               // 000000002AC8: 2004028A
	v_and_b32_e32 v2, 0x3ff, v2                                // 000000002ACC: 260404FF 000003FF
	v_and_b32_e32 v1, 0x3ff, v1                                // 000000002AD4: 260202FF 000003FF
	v_and_b32_e32 v0, 0x3ff, v0                                // 000000002ADC: 260000FF 000003FF
	v_lshrrev_b32_e32 v3, 6, v0                                // 000000002AE4: 20060086
	v_and_b32_e32 v0, 63, v0                                   // 000000002AE8: 260000BF
	s_mov_b32 s2, s2                                           // 000000002AEC: BE820002
	s_mov_b32 s3, s3                                           // 000000002AF0: BE830003
	s_mov_b32 s4, s4                                           // 000000002AF4: BE840004
	v_readfirstlane_b32 s7, v3                                 // 000000002AF8: 7E0E0503
	s_waitcnt lgkmcnt(0)                                       // 000000002AFC: BF8CC07F
	s_and_b32 s49, s49, 0xffff                                 // 000000002B00: 8631FF31 0000FFFF
	s_load_dword s48, s[48:49], 0x0                            // 000000002B08: C0020C18 00000000
	s_and_b32 s45, s45, 0xffff                                 // 000000002B10: 862DFF2D 0000FFFF
	s_and_b32 s9, s9, 0xffff                                   // 000000002B18: 8609FF09 0000FFFF
	s_mul_i32 s60, s66, s68                                    // 000000002B20: 923C4442
	s_mul_i32 s61, s66, 4                                      // 000000002B24: 923D8442
	s_mov_b32 s22, s60                                         // 000000002B28: BE96003C
	s_mov_b32 s26, -16                                         // 000000002B2C: BE9A00D0
	s_mov_b32 s30, s61                                         // 000000002B30: BE9E003D
	s_mov_b32 s14, 0x100                                       // 000000002B34: BE8E00FF 00000100
	s_mov_b32 s38, -16                                         // 000000002B3C: BEA600D0
	s_mov_b32 s10, -16                                         // 000000002B40: BE8A00D0
	s_mov_b32 s34, 0x100                                       // 000000002B44: BEA200FF 00000100
	s_mov_b32 s23, 0x20000                                     // 000000002B4C: BE9700FF 00020000
	s_mov_b32 s27, 0x20000                                     // 000000002B54: BE9B00FF 00020000
	s_mov_b32 s31, 0x20000                                     // 000000002B5C: BE9F00FF 00020000
	s_mov_b32 s35, 0x20000                                     // 000000002B64: BEA300FF 00020000
	s_mov_b32 s15, 0x20000                                     // 000000002B6C: BE8F00FF 00020000
	s_mov_b32 s39, 0x20000                                     // 000000002B74: BEA700FF 00020000
	s_mov_b32 s11, 0x20000                                     // 000000002B7C: BE8B00FF 00020000
	s_and_b32 s21, s21, 0xffff                                 // 000000002B84: 8615FF15 0000FFFF
	s_and_b32 s25, s25, 0xffff                                 // 000000002B8C: 8619FF19 0000FFFF
	s_and_b32 s29, s29, 0xffff                                 // 000000002B94: 861DFF1D 0000FFFF
	s_and_b32 s33, s33, 0xffff                                 // 000000002B9C: 8621FF21 0000FFFF
	s_and_b32 s13, s13, 0xffff                                 // 000000002BA4: 860DFF0D 0000FFFF
	s_and_b32 s37, s37, 0xffff                                 // 000000002BAC: 8625FF25 0000FFFF
	s_or_b32 s21, s21, 0x40000                                 // 000000002BB4: 8715FF15 00040000
	s_or_b32 s25, s25, 0x40000                                 // 000000002BBC: 8719FF19 00040000
	s_or_b32 s29, s29, 0x40000                                 // 000000002BC4: 871DFF1D 00040000
	s_or_b32 s33, s33, 0x40000                                 // 000000002BCC: 8721FF21 00040000
	s_or_b32 s13, s13, 0x40000                                 // 000000002BD4: 870DFF0D 00040000
	s_or_b32 s37, s37, 0x40000                                 // 000000002BDC: 8725FF25 00040000
	s_mov_b32 s42, -16                                         // 000000002BE4: BEAA00D0
	s_mov_b32 s43, 0x20000                                     // 000000002BE8: BEAB00FF 00020000
	s_and_b32 s41, s41, 0xffff                                 // 000000002BF0: 8629FF29 0000FFFF
	s_or_b32 s41, s41, 0x40000                                 // 000000002BF8: 8729FF29 00040000
	v_accvgpr_write_b32 a87, 0                                 // 000000002C00: D3D94057 18000080
	v_mov_b32_e32 v91, 0                                       // 000000002C08: 7EB60280
	s_waitcnt lgkmcnt(0)                                       // 000000002C0C: BF8CC07F
	s_mul_i32 s60, s3, 64                                      // 000000002C10: 923CC003
	s_cmp_lt_i32 s60, s48                                      // 000000002C14: BF04303C
	s_cbranch_scc0 label_16F0                                  // 000000002C18: BF841666
	s_mov_b32 s80, 0                                           // 000000002C1C: BED00080
	s_lshr_b32 s81, s64, s88                                   // 000000002C20: 8F515840
	s_mul_i32 s60, s3, 4                                       // 000000002C24: 923C8403
	s_add_u32 s44, s60, s44                                    // 000000002C28: 802C2C3C
	s_addc_u32 s45, 0, s45                                     // 000000002C2C: 822D2D80
	s_load_dword s5, s[44:45], 0x0                             // 000000002C30: C0020156 00000000
	s_mul_i32 s60, s3, 64                                      // 000000002C38: 923CC003
	s_mul_i32 s60, 4, s60                                      // 000000002C3C: 923C3C84
	s_add_u32 s12, s60, s12                                    // 000000002C40: 800C0C3C
	s_addc_u32 s13, 0, s13                                     // 000000002C44: 820D0D80
	v_and_b32_e32 v4, 15, v0                                   // 000000002C48: 2608008F
	v_lshlrev_b32_e32 v4, 2, v4                                // 000000002C4C: 24080882
	buffer_load_dword v30, v4, s[12:15], 0 offen               // 000000002C50: E0501000 80031E04
	v_add_u32_e32 v4, 64, v4                                   // 000000002C58: 680808C0
	buffer_load_dword v31, v4, s[12:15], 0 offen               // 000000002C5C: E0501000 80031F04
	v_add_u32_e32 v4, 64, v4                                   // 000000002C64: 680808C0
	buffer_load_dword v32, v4, s[12:15], 0 offen               // 000000002C68: E0501000 80032004
	v_add_u32_e32 v4, 64, v4                                   // 000000002C70: 680808C0
	buffer_load_dword v33, v4, s[12:15], 0 offen               // 000000002C74: E0501000 80032104
	v_add_u32_e32 v4, 64, v4                                   // 000000002C7C: 680808C0
	s_mul_i32 s60, 4, s7                                       // 000000002C80: 923C0784
	v_lshlrev_b32_e32 v4, 4, v0                                // 000000002C84: 24080084
	v_add_u32_e32 v4, s60, v4                                  // 000000002C88: 6808083C
	buffer_load_dword v3, v4, s[12:15], 0 offen                // 000000002C8C: E0501000 80030304
	v_mov_b32_e32 v56, 0                                       // 000000002C94: 7E700280
	v_mov_b32_e32 v72, 0                                       // 000000002C98: 7E900280
	v_mov_b32_e32 v57, 0                                       // 000000002C9C: 7E720280
	v_mov_b32_e32 v73, 0                                       // 000000002CA0: 7E920280
	v_mov_b32_e32 v58, 0                                       // 000000002CA4: 7E740280
	v_mov_b32_e32 v74, 0                                       // 000000002CA8: 7E940280
	v_mov_b32_e32 v59, 0                                       // 000000002CAC: 7E760280
	v_mov_b32_e32 v75, 0                                       // 000000002CB0: 7E960280
	v_mov_b32_e32 v60, 0                                       // 000000002CB4: 7E780280
	v_mov_b32_e32 v76, 0                                       // 000000002CB8: 7E980280
	v_mov_b32_e32 v61, 0                                       // 000000002CBC: 7E7A0280
	v_mov_b32_e32 v77, 0                                       // 000000002CC0: 7E9A0280
	v_mov_b32_e32 v62, 0                                       // 000000002CC4: 7E7C0280
	v_mov_b32_e32 v78, 0                                       // 000000002CC8: 7E9C0280
	v_mov_b32_e32 v63, 0                                       // 000000002CCC: 7E7E0280
	v_mov_b32_e32 v79, 0                                       // 000000002CD0: 7E9E0280
	v_mov_b32_e32 v64, 0                                       // 000000002CD4: 7E800280
	v_mov_b32_e32 v80, 0                                       // 000000002CD8: 7EA00280
	v_mov_b32_e32 v65, 0                                       // 000000002CDC: 7E820280
	v_mov_b32_e32 v81, 0                                       // 000000002CE0: 7EA20280
	v_mov_b32_e32 v66, 0                                       // 000000002CE4: 7E840280
	v_mov_b32_e32 v82, 0                                       // 000000002CE8: 7EA40280
	v_mov_b32_e32 v67, 0                                       // 000000002CEC: 7E860280
	v_mov_b32_e32 v83, 0                                       // 000000002CF0: 7EA60280
	v_mov_b32_e32 v68, 0                                       // 000000002CF4: 7E880280
	v_mov_b32_e32 v84, 0                                       // 000000002CF8: 7EA80280
	v_mov_b32_e32 v69, 0                                       // 000000002CFC: 7E8A0280
	v_mov_b32_e32 v85, 0                                       // 000000002D00: 7EAA0280
	v_mov_b32_e32 v70, 0                                       // 000000002D04: 7E8C0280
	v_mov_b32_e32 v86, 0                                       // 000000002D08: 7EAC0280
	v_mov_b32_e32 v71, 0                                       // 000000002D0C: 7E8E0280
	v_mov_b32_e32 v87, 0                                       // 000000002D10: 7EAE0280
	s_mul_i32 s60, s2, 0x80                                    // 000000002D14: 923CFF02 00000080
	s_cmp_eq_u32 s88, 0                                        // 000000002D1C: BF068058
	s_cselect_b32 s61, 1, 2                                    // 000000002D20: 853D8281
	s_mul_i32 s60, s60, s61                                    // 000000002D24: 923C3D3C
	s_mov_b32 s90, s8                                          // 000000002D28: BEDA0008
	s_mov_b32 s91, s9                                          // 000000002D2C: BEDB0009
	s_add_u32 s8, s60, s8                                      // 000000002D30: 8008083C
	s_addc_u32 s9, 0, s9                                       // 000000002D34: 82090980
	v_lshrrev_b32_e32 v4, 4, v0                                // 000000002D38: 20080084
	v_mul_lo_u32 v20, 34, v4                                   // 000000002D3C: D2850014 000208A2
	v_and_b32_e32 v4, 15, v0                                   // 000000002D44: 2608008F
	v_mul_lo_u32 v5, 2, v4                                     // 000000002D48: D2850005 00020882
	v_add_u32_e32 v20, v5, v20                                 // 000000002D50: 68282905
	s_mul_i32 s60, s7, 0x88                                    // 000000002D54: 923CFF07 00000088
	v_add_u32_e32 v20, s60, v20                                // 000000002D5C: 6828283C
	v_lshlrev_b32_e32 v20, 2, v20                              // 000000002D60: 24282882
	v_and_b32_e32 v4, 31, v0                                   // 000000002D64: 2608009F
	v_lshrrev_b32_e32 v4, 1, v4                                // 000000002D68: 20080881
	v_mul_lo_u32 v21, 34, v4                                   // 000000002D6C: D2850015 000208A2
	v_lshrrev_b32_e32 v4, 5, v0                                // 000000002D74: 20080085
	v_mul_lo_u32 v4, 8, v4                                     // 000000002D78: D2850004 00020888
	v_add_u32_e32 v21, v21, v4                                 // 000000002D80: 682A0915
	v_and_b32_e32 v5, 1, v0                                    // 000000002D84: 260A0081
	v_add_u32_e32 v21, v5, v21                                 // 000000002D88: 682A2B05
	s_mul_i32 s60, s7, 2                                       // 000000002D8C: 923C8207
	v_add_u32_e32 v21, s60, v21                                // 000000002D90: 682A2A3C
	v_lshlrev_b32_e32 v21, 2, v21                              // 000000002D94: 242A2A82
	s_mul_i32 s60, s7, 0x820                                   // 000000002D98: 923CFF07 00000820
	s_add_u32 s48, 0, s60                                      // 000000002DA0: 80303C80
	s_add_u32 s49, 0x2080, s48                                 // 000000002DA4: 803130FF 00002080
	s_add_u32 s50, 0x2080, s49                                 // 000000002DAC: 803231FF 00002080
	v_lshrrev_b32_e32 v4, 4, v0                                // 000000002DB4: 20080084
	v_lshlrev_b32_e32 v5, 2, v4                                // 000000002DB8: 240A0882
	v_and_b32_e32 v4, 15, v0                                   // 000000002DBC: 2608008F
	v_lshrrev_b32_e32 v6, 2, v4                                // 000000002DC0: 200C0882
	v_lshlrev_b32_e32 v6, 5, v6                                // 000000002DC4: 240C0C85
	v_add_u32_e32 v5, v6, v5                                   // 000000002DC8: 680A0B06
	v_and_b32_e32 v4, 3, v0                                    // 000000002DCC: 26080083
	v_mul_u32_u24_e32 v6, 0x208, v4                            // 000000002DD0: 100C08FF 00000208
	v_add_u32_e32 v5, v6, v5                                   // 000000002DD8: 680A0B06
	v_lshlrev_b32_e32 v2, 2, v5                                // 000000002DDC: 24040A82
	s_waitcnt lgkmcnt(0)                                       // 000000002DE0: BF8CC07F
	s_mul_i32 s60, s2, 64                                      // 000000002DE4: 923CC002
	s_mul_i32 s60, s60, s69                                    // 000000002DE8: 923C453C
	s_mul_i32 s61, s5, s72                                     // 000000002DEC: 923D4805
	s_add_u32 s60, s61, s60                                    // 000000002DF0: 803C3C3D
	s_add_u32 s24, s60, s24                                    // 000000002DF4: 8018183C
	s_addc_u32 s25, 0, s25                                     // 000000002DF8: 82191980
	s_lshr_b32 s60, s64, s88                                   // 000000002DFC: 8F3C5840
	s_mul_i32 s60, s4, s60                                     // 000000002E00: 923C3C04
	s_lshr_b32 s60, s60, 7                                     // 000000002E04: 8F3C873C
	s_mul_i32 s60, s60, 0x800                                  // 000000002E08: 923CFF3C 00000800
	s_add_u32 s24, s60, s24                                    // 000000002E10: 8018183C
	s_addc_u32 s25, 0, s25                                     // 000000002E14: 82191980
	s_lshr_b32 s60, s69, s88                                   // 000000002E18: 8F3C5845
	s_mul_i32 s60, s4, s60                                     // 000000002E1C: 923C3C04
	s_add_u32 s20, s60, s20                                    // 000000002E20: 8014143C
	s_addc_u32 s21, 0, s21                                     // 000000002E24: 82151580
	s_mul_i32 s60, s7, 16                                      // 000000002E28: 923C9007
	s_mul_i32 s60, s60, s69                                    // 000000002E2C: 923C453C
	v_lshlrev_b32_e32 v54, 4, v0                               // 000000002E30: 246C0084
	v_add_u32_e32 v54, s60, v54                                // 000000002E34: 686C6C3C
	s_mul_i32 s60, 64, s69                                     // 000000002E38: 923C45C0
	s_mov_b32 s84, s24                                         // 000000002E3C: BED40018
	s_mov_b32 s85, s25                                         // 000000002E40: BED50019
	s_mov_b32 s86, s26                                         // 000000002E44: BED6001A
	s_mov_b32 s87, s27                                         // 000000002E48: BED7001B
	s_mul_i32 s60, s69, s65                                    // 000000002E4C: 923C4145
	s_add_u32 s84, s60, s84                                    // 000000002E50: 8054543C
	s_addc_u32 s85, 0, s85                                     // 000000002E54: 82555580
	v_lshrrev_b32_e32 v4, 4, v0                                // 000000002E58: 20080084
	v_lshlrev_b32_e32 v5, 2, v4                                // 000000002E5C: 240A0882
	v_and_b32_e32 v4, 15, v0                                   // 000000002E60: 2608008F
	v_lshrrev_b32_e32 v6, 2, v4                                // 000000002E64: 200C0882
	v_lshlrev_b32_e32 v6, 6, v6                                // 000000002E68: 240C0C86
	v_add_u32_e32 v5, v6, v5                                   // 000000002E6C: 680A0B06
	v_and_b32_e32 v4, 3, v0                                    // 000000002E70: 26080083
	v_add_u32_e32 v5, v4, v5                                   // 000000002E74: 680A0B04
	v_lshlrev_b32_e32 v22, 2, v5                               // 000000002E78: 242C0A82
	s_mul_i32 s60, s7, 16                                      // 000000002E7C: 923C9007
	s_mul_i32 s60, s60, 4                                      // 000000002E80: 923C843C
	v_add_u32_e32 v22, s60, v22                                // 000000002E84: 682C2C3C
	s_mul_i32 s60, s2, 64                                      // 000000002E88: 923CC002
	s_mul_i32 s60, s60, 4                                      // 000000002E8C: 923C843C
	s_mul_i32 s61, s5, s74                                     // 000000002E90: 923D4A05
	s_add_u32 s61, s61, s60                                    // 000000002E94: 803D3C3D
	s_add_u32 s32, s61, s32                                    // 000000002E98: 8020203D
	s_addc_u32 s33, 0, s33                                     // 000000002E9C: 82212180
	s_mov_b32 s57, 0x80                                        // 000000002EA0: BEB900FF 00000080
	s_mov_b32 s58, 0x800                                       // 000000002EA8: BEBA00FF 00000800
	s_mov_b32 s83, s58                                         // 000000002EB0: BED3003A
	s_mov_b32 s52, 0x7060302                                   // 000000002EB4: BEB400FF 07060302
	s_mov_b32 s53, 0x400                                       // 000000002EBC: BEB500FF 00000400
	s_mov_b32 s54, 0x40100                                     // 000000002EC4: BEB600FF 00040100
	s_mov_b32 s55, 0x4020100                                   // 000000002ECC: BEB700FF 04020100
	s_mov_b32 s6, 0x3fb8aa3b                                   // 000000002ED4: BE8600FF 3FB8AA3B
	s_mov_b32 s78, 0xbd92220c                                  // 000000002EDC: BECE00FF BD92220C
	s_mov_b32 s79, 0xbd92220c                                  // 000000002EE4: BECF00FF BD92220C
	s_mov_b32 m0, s48                                          // 000000002EEC: BEFC0030
	v_mov_b32_e32 v1, 0xbfcc4231                               // 000000002EF0: 7E0202FF BFCC4231
	v_mov_b32_e32 v17, 0xffff0000                              // 000000002EF8: 7E2202FF FFFF0000
	v_mov_b32_e32 v18, 0x7fff0000                              // 000000002F00: 7E2402FF 7FFF0000
	v_mov_b32_e32 v19, 0x7fff                                  // 000000002F08: 7E2602FF 00007FFF
	s_waitcnt vmcnt(0) expcnt(0) lgkmcnt(0)                    // 000000002F10: BF8C0000
	s_mul_i32 s60, s3, 64                                      // 000000002F14: 923CC003
	s_mul_i32 s60, 4, s60                                      // 000000002F18: 923C3C84
	s_add_u32 s40, s60, s40                                    // 000000002F1C: 8028283C
	s_addc_u32 s41, 0, s41                                     // 000000002F20: 82292980
	v_and_b32_e32 v4, 15, v0                                   // 000000002F24: 2608008F
	v_lshlrev_b32_e32 v4, 2, v4                                // 000000002F28: 24080882
	buffer_load_dword v88, v4, s[40:43], 0 offen               // 000000002F2C: E0501000 800A5804
	buffer_load_dword v89, v4, s[40:43], 0 offen offset:64     // 000000002F34: E0501040 800A5904
	buffer_load_dword v90, v4, s[40:43], 0 offen offset:128    // 000000002F3C: E0501080 800A5A04
	buffer_load_dword v91, v4, s[40:43], 0 offen offset:192    // 000000002F44: E05010C0 800A5B04
	v_lshrrev_b32_e32 v4, 5, v0                                // 000000002F4C: 20080085
	v_xor_b32_e32 v5, 1, v4                                    // 000000002F50: 2A0A0881
	v_readlane_b32 s82, v3, 0                                  // 000000002F54: D2890052 00010103
	s_and_b32 s82, s82, 0xffffff                               // 000000002F5C: 8652FF52 00FFFFFF
	v_mul_lo_u32 v6, v5, s82                                   // 000000002F64: D2850006 0000A505
	v_readlane_b32 s82, v3, 1                                  // 000000002F6C: D2890052 00010303
	s_and_b32 s82, s82, 0xffffff                               // 000000002F74: 8652FF52 00FFFFFF
	v_mul_lo_u32 v7, v4, s82                                   // 000000002F7C: D2850007 0000A504
	v_add_u32_e32 v46, v6, v7                                  // 000000002F84: 685C0F06
	v_mul_lo_u32 v46, v46, s68                                 // 000000002F88: D285002E 0000892E
	v_readlane_b32 s82, v3, 2                                  // 000000002F90: D2890052 00010503
	s_and_b32 s82, s82, 0xffffff                               // 000000002F98: 8652FF52 00FFFFFF
	v_mul_lo_u32 v6, v5, s82                                   // 000000002FA0: D2850006 0000A505
	v_readlane_b32 s82, v3, 3                                  // 000000002FA8: D2890052 00010703
	s_and_b32 s82, s82, 0xffffff                               // 000000002FB0: 8652FF52 00FFFFFF
	v_mul_lo_u32 v7, v4, s82                                   // 000000002FB8: D2850007 0000A504
	v_add_u32_e32 v47, v6, v7                                  // 000000002FC0: 685E0F06
	v_mul_lo_u32 v47, v47, s68                                 // 000000002FC4: D285002F 0000892F
	v_readlane_b32 s82, v3, 4                                  // 000000002FCC: D2890052 00010903
	s_and_b32 s82, s82, 0xffffff                               // 000000002FD4: 8652FF52 00FFFFFF
	v_mul_lo_u32 v6, v5, s82                                   // 000000002FDC: D2850006 0000A505
	v_readlane_b32 s82, v3, 5                                  // 000000002FE4: D2890052 00010B03
	s_and_b32 s82, s82, 0xffffff                               // 000000002FEC: 8652FF52 00FFFFFF
	v_mul_lo_u32 v7, v4, s82                                   // 000000002FF4: D2850007 0000A504
	v_add_u32_e32 v48, v6, v7                                  // 000000002FFC: 68600F06
	v_mul_lo_u32 v48, v48, s68                                 // 000000003000: D2850030 00008930
	v_readlane_b32 s82, v3, 6                                  // 000000003008: D2890052 00010D03
	s_and_b32 s82, s82, 0xffffff                               // 000000003010: 8652FF52 00FFFFFF
	v_mul_lo_u32 v6, v5, s82                                   // 000000003018: D2850006 0000A505
	v_readlane_b32 s82, v3, 7                                  // 000000003020: D2890052 00010F03
	s_and_b32 s82, s82, 0xffffff                               // 000000003028: 8652FF52 00FFFFFF
	v_mul_lo_u32 v7, v4, s82                                   // 000000003030: D2850007 0000A504
	v_add_u32_e32 v49, v6, v7                                  // 000000003038: 68620F06
	v_mul_lo_u32 v49, v49, s68                                 // 00000000303C: D2850031 00008931
	v_readlane_b32 s82, v3, 8                                  // 000000003044: D2890052 00011103
	s_and_b32 s82, s82, 0xffffff                               // 00000000304C: 8652FF52 00FFFFFF
	v_mul_lo_u32 v6, v5, s82                                   // 000000003054: D2850006 0000A505
	v_readlane_b32 s82, v3, 9                                  // 00000000305C: D2890052 00011303
	s_and_b32 s82, s82, 0xffffff                               // 000000003064: 8652FF52 00FFFFFF
	v_mul_lo_u32 v7, v4, s82                                   // 00000000306C: D2850007 0000A504
	v_add_u32_e32 v50, v6, v7                                  // 000000003074: 68640F06
	v_mul_lo_u32 v50, v50, s68                                 // 000000003078: D2850032 00008932
	v_readlane_b32 s82, v3, 10                                 // 000000003080: D2890052 00011503
	s_and_b32 s82, s82, 0xffffff                               // 000000003088: 8652FF52 00FFFFFF
	v_mul_lo_u32 v6, v5, s82                                   // 000000003090: D2850006 0000A505
	v_readlane_b32 s82, v3, 11                                 // 000000003098: D2890052 00011703
	s_and_b32 s82, s82, 0xffffff                               // 0000000030A0: 8652FF52 00FFFFFF
	v_mul_lo_u32 v7, v4, s82                                   // 0000000030A8: D2850007 0000A504
	v_add_u32_e32 v51, v6, v7                                  // 0000000030B0: 68660F06
	v_mul_lo_u32 v51, v51, s68                                 // 0000000030B4: D2850033 00008933
	v_readlane_b32 s82, v3, 12                                 // 0000000030BC: D2890052 00011903
	s_and_b32 s82, s82, 0xffffff                               // 0000000030C4: 8652FF52 00FFFFFF
	v_mul_lo_u32 v6, v5, s82                                   // 0000000030CC: D2850006 0000A505
	v_readlane_b32 s82, v3, 13                                 // 0000000030D4: D2890052 00011B03
	s_and_b32 s82, s82, 0xffffff                               // 0000000030DC: 8652FF52 00FFFFFF
	v_mul_lo_u32 v7, v4, s82                                   // 0000000030E4: D2850007 0000A504
	v_add_u32_e32 v52, v6, v7                                  // 0000000030EC: 68680F06
	v_mul_lo_u32 v52, v52, s68                                 // 0000000030F0: D2850034 00008934
	v_readlane_b32 s82, v3, 14                                 // 0000000030F8: D2890052 00011D03
	s_and_b32 s82, s82, 0xffffff                               // 000000003100: 8652FF52 00FFFFFF
	v_mul_lo_u32 v6, v5, s82                                   // 000000003108: D2850006 0000A505
	v_readlane_b32 s82, v3, 15                                 // 000000003110: D2890052 00011F03
	s_and_b32 s82, s82, 0xffffff                               // 000000003118: 8652FF52 00FFFFFF
	v_mul_lo_u32 v7, v4, s82                                   // 000000003120: D2850007 0000A504
	v_add_u32_e32 v53, v6, v7                                  // 000000003128: 686A0F06
	v_mul_lo_u32 v53, v53, s68                                 // 00000000312C: D2850035 00008935
	v_and_b32_e32 v4, 31, v0                                   // 000000003134: 2608009F
	v_lshlrev_b32_e32 v4, 2, v4                                // 000000003138: 24080882
	v_add_u32_e32 v46, v46, v4                                 // 00000000313C: 685C092E
	v_add_u32_e32 v47, v47, v4                                 // 000000003140: 685E092F
	v_add_u32_e32 v48, v48, v4                                 // 000000003144: 68600930
	v_add_u32_e32 v49, v49, v4                                 // 000000003148: 68620931
	v_add_u32_e32 v50, v50, v4                                 // 00000000314C: 68640932
	v_add_u32_e32 v51, v51, v4                                 // 000000003150: 68660933
	v_add_u32_e32 v52, v52, v4                                 // 000000003154: 68680934
	v_add_u32_e32 v53, v53, v4                                 // 000000003158: 686A0935
	v_and_b32_e32 v30, 0xffffff, v30                           // 00000000315C: 263C3CFF 00FFFFFF
	v_lshlrev_b32_e32 v30, 2, v30                              // 000000003164: 243C3C82
	v_and_b32_e32 v31, 0xffffff, v31                           // 000000003168: 263E3EFF 00FFFFFF
	v_lshlrev_b32_e32 v31, 2, v31                              // 000000003170: 243E3E82
	v_and_b32_e32 v32, 0xffffff, v32                           // 000000003174: 264040FF 00FFFFFF
	v_lshlrev_b32_e32 v32, 2, v32                              // 00000000317C: 24404082
	v_and_b32_e32 v33, 0xffffff, v33                           // 000000003180: 264242FF 00FFFFFF
	v_lshlrev_b32_e32 v33, 2, v33                              // 000000003188: 24424282
	s_lshl_b32 s3, s66, 2                                      // 00000000318C: 8E038242
	buffer_load_dword v34, v30, s[28:31], 0 offen              // 000000003190: E0501000 8007221E
	buffer_load_dword v35, v31, s[28:31], 0 offen              // 000000003198: E0501000 8007231F
	buffer_load_dword v36, v32, s[28:31], 0 offen              // 0000000031A0: E0501000 80072420
	buffer_load_dword v37, v33, s[28:31], 0 offen              // 0000000031A8: E0501000 80072521
	buffer_load_dword v24, v22, s[32:35], 0 offen              // 0000000031B0: E0501000 80081816
	s_mul_i32 s60, 4, s65                                      // 0000000031B8: 923C4184
	s_add_u32 s32, s60, s32                                    // 0000000031BC: 8020203C
	s_addc_u32 s33, 0, s33                                     // 0000000031C0: 82212180
	buffer_load_dword v27, v22, s[32:35], 0 offen              // 0000000031C4: E0501000 80081B16
	buffer_load_dword v46, s[20:23], 0 offen lds               // 0000000031CC: E0511000 8005002E
	s_add_u32 m0, 0x100, s48                                   // 0000000031D4: 807C30FF 00000100
	buffer_load_dword v47, s[20:23], 0 offen lds               // 0000000031DC: E0511000 8005002F
	s_add_u32 m0, 0x200, s48                                   // 0000000031E4: 807C30FF 00000200
	buffer_load_dword v48, s[20:23], 0 offen lds               // 0000000031EC: E0511000 80050030
	s_add_u32 m0, 0x300, s48                                   // 0000000031F4: 807C30FF 00000300
	buffer_load_dword v49, s[20:23], 0 offen lds               // 0000000031FC: E0511000 80050031
	s_add_u32 m0, 0x400, s48                                   // 000000003204: 807C30FF 00000400
	buffer_load_dword v50, s[20:23], 0 offen lds               // 00000000320C: E0511000 80050032
	s_add_u32 m0, 0x500, s48                                   // 000000003214: 807C30FF 00000500
	buffer_load_dword v51, s[20:23], 0 offen lds               // 00000000321C: E0511000 80050033
	s_add_u32 m0, 0x600, s48                                   // 000000003224: 807C30FF 00000600
	buffer_load_dword v52, s[20:23], 0 offen lds               // 00000000322C: E0511000 80050034
	s_add_u32 m0, 0x700, s48                                   // 000000003234: 807C30FF 00000700
	buffer_load_dword v53, s[20:23], 0 offen lds               // 00000000323C: E0511000 80050035
	s_add_u32 m0, 0, s49                                       // 000000003244: 807C3180
	s_add_u32 s20, s57, s20                                    // 000000003248: 80141439
	s_addc_u32 s21, 0, s21                                     // 00000000324C: 82151580
	buffer_load_dwordx4 a[64:67], v54, s[24:27], 0 offen       // 000000003250: E05C1000 80864036
	buffer_load_dwordx4 a[68:71], v54, s[24:27], 0 offen offset:1024// 000000003258: E05C1400 80864436
	s_add_u32 s24, s58, s24                                    // 000000003260: 8018183A
	s_addc_u32 s25, 0, s25                                     // 000000003264: 82191980
	buffer_load_dword v46, s[20:23], 0 offen lds               // 000000003268: E0511000 8005002E
	s_add_u32 m0, 0x100, s49                                   // 000000003270: 807C31FF 00000100
	buffer_load_dword v47, s[20:23], 0 offen lds               // 000000003278: E0511000 8005002F
	s_add_u32 m0, 0x200, s49                                   // 000000003280: 807C31FF 00000200
	buffer_load_dword v48, s[20:23], 0 offen lds               // 000000003288: E0511000 80050030
	s_add_u32 m0, 0x300, s49                                   // 000000003290: 807C31FF 00000300
	buffer_load_dword v49, s[20:23], 0 offen lds               // 000000003298: E0511000 80050031
	s_add_u32 m0, 0x400, s49                                   // 0000000032A0: 807C31FF 00000400
	buffer_load_dword v50, s[20:23], 0 offen lds               // 0000000032A8: E0511000 80050032
	s_add_u32 m0, 0x500, s49                                   // 0000000032B0: 807C31FF 00000500
	buffer_load_dword v51, s[20:23], 0 offen lds               // 0000000032B8: E0511000 80050033
	s_add_u32 m0, 0x600, s49                                   // 0000000032C0: 807C31FF 00000600
	buffer_load_dword v52, s[20:23], 0 offen lds               // 0000000032C8: E0511000 80050034
	s_add_u32 m0, 0x700, s49                                   // 0000000032D0: 807C31FF 00000700
	buffer_load_dword v53, s[20:23], 0 offen lds               // 0000000032D8: E0511000 80050035
	s_add_u32 m0, 0, s50                                       // 0000000032E0: 807C3280
	s_add_u32 s20, s57, s20                                    // 0000000032E4: 80141439
	s_addc_u32 s21, 0, s21                                     // 0000000032E8: 82151580
	buffer_load_dwordx4 a[72:75], v54, s[84:87], 0 offen       // 0000000032EC: E05C1000 80954836
	buffer_load_dwordx4 a[76:79], v54, s[84:87], 0 offen offset:1024// 0000000032F4: E05C1400 80954C36
	s_add_u32 s84, s83, s84                                    // 0000000032FC: 80545453
	s_addc_u32 s85, 0, s85                                     // 000000003300: 82555580
	s_waitcnt vmcnt(12)                                        // 000000003304: BF8C0F7C
	s_barrier                                                  // 000000003308: BF8A0000
	ds_read_b128 a[0:3], v2                                    // 00000000330C: DBFE0000 00000002
	ds_read_b128 a[4:7], v2 offset:64                          // 000000003314: DBFE0040 04000002
	ds_read_b128 a[8:11], v2 offset:512                        // 00000000331C: DBFE0200 08000002
	ds_read_b128 a[12:15], v2 offset:576                       // 000000003324: DBFE0240 0C000002
	ds_read_b128 a[16:19], v2 offset:1024                      // 00000000332C: DBFE0400 10000002
	ds_read_b128 a[20:23], v2 offset:1088                      // 000000003334: DBFE0440 14000002
	ds_read_b128 a[24:27], v2 offset:1536                      // 00000000333C: DBFE0600 18000002
	ds_read_b128 a[28:31], v2 offset:1600                      // 000000003344: DBFE0640 1C000002
	s_cmp_lt_i32 s7, 2                                         // 00000000334C: BF048207
	s_cbranch_scc0 label_0CA4                                  // 000000003350: BF840A4C

0000000000003354 <label_0255>:
	s_waitcnt vmcnt(10) lgkmcnt(0)                             // 000000003354: BF8C007A
	v_mfma_f32_16x16x32_fp8_fp8 v[56:59], a[64:65], a[0:1], v[56:59]// 000000003358: D3F30038 1CE20140
	v_mfma_f32_16x16x32_fp8_fp8 v[56:59], a[66:67], a[2:3], v[56:59]// 000000003360: D3F30038 1CE20542
	buffer_load_dwordx4 a[80:83], v54, s[24:27], 0 offen       // 000000003368: E05C1000 80865036
	v_mfma_f32_16x16x32_fp8_fp8 v[56:59], a[68:69], a[4:5], v[56:59]// 000000003370: D3F30038 1CE20944
	v_mfma_f32_16x16x32_fp8_fp8 v[56:59], a[70:71], a[6:7], v[56:59]// 000000003378: D3F30038 1CE20D46
	v_mfma_f32_16x16x32_fp8_fp8 v[60:63], a[64:65], a[8:9], v[60:63]// 000000003380: D3F3003C 1CF21140
	v_mfma_f32_16x16x32_fp8_fp8 v[60:63], a[66:67], a[10:11], v[60:63]// 000000003388: D3F3003C 1CF21542
	buffer_load_dwordx4 a[84:87], v54, s[24:27], 0 offen offset:1024// 000000003390: E05C1400 80865436
	buffer_load_dword v46, s[20:23], 0 offen lds               // 000000003398: E0511000 8005002E
	s_add_u32 m0, 0x100, s50                                   // 0000000033A0: 807C32FF 00000100
	v_mfma_f32_16x16x32_fp8_fp8 v[60:63], a[68:69], a[12:13], v[60:63]// 0000000033A8: D3F3003C 1CF21944
	v_mfma_f32_16x16x32_fp8_fp8 v[60:63], a[70:71], a[14:15], v[60:63]// 0000000033B0: D3F3003C 1CF21D46
	buffer_load_dword v47, s[20:23], 0 offen lds               // 0000000033B8: E0511000 8005002F
	s_add_u32 m0, 0x200, s50                                   // 0000000033C0: 807C32FF 00000200
	v_mfma_f32_16x16x32_fp8_fp8 v[64:67], a[64:65], a[16:17], v[64:67]// 0000000033C8: D3F30040 1D022140
	v_mfma_f32_16x16x32_fp8_fp8 v[64:67], a[66:67], a[18:19], v[64:67]// 0000000033D0: D3F30040 1D022542
	buffer_load_dword v48, s[20:23], 0 offen lds               // 0000000033D8: E0511000 80050030
	s_add_u32 m0, 0x300, s50                                   // 0000000033E0: 807C32FF 00000300
	v_mfma_f32_16x16x32_fp8_fp8 v[64:67], a[68:69], a[20:21], v[64:67]// 0000000033E8: D3F30040 1D022944
	v_mfma_f32_16x16x32_fp8_fp8 v[64:67], a[70:71], a[22:23], v[64:67]// 0000000033F0: D3F30040 1D022D46
	buffer_load_dword v49, s[20:23], 0 offen lds               // 0000000033F8: E0511000 80050031
	s_add_u32 m0, 0x400, s50                                   // 000000003400: 807C32FF 00000400
	v_mfma_f32_16x16x32_fp8_fp8 v[68:71], a[64:65], a[24:25], v[68:71]// 000000003408: D3F30044 1D123140
	v_mfma_f32_16x16x32_fp8_fp8 v[68:71], a[66:67], a[26:27], v[68:71]// 000000003410: D3F30044 1D123542
	buffer_load_dword v50, s[20:23], 0 offen lds               // 000000003418: E0511000 80050032
	s_add_u32 m0, 0x500, s50                                   // 000000003420: 807C32FF 00000500
	v_mfma_f32_16x16x32_fp8_fp8 v[68:71], a[68:69], a[28:29], v[68:71]// 000000003428: D3F30044 1D123944
	v_mfma_f32_16x16x32_fp8_fp8 v[68:71], a[70:71], a[30:31], v[68:71]// 000000003430: D3F30044 1D123D46
	buffer_load_dword v51, s[20:23], 0 offen lds               // 000000003438: E0511000 80050033
	s_add_u32 m0, 0x600, s50                                   // 000000003440: 807C32FF 00000600
	buffer_load_dword v52, s[20:23], 0 offen lds               // 000000003448: E0511000 80050034
	s_add_u32 m0, 0x700, s50                                   // 000000003450: 807C32FF 00000700
	buffer_load_dword v53, s[20:23], 0 offen lds               // 000000003458: E0511000 80050035
	s_add_u32 m0, 0, s48                                       // 000000003460: 807C3080
	s_waitcnt vmcnt(10)                                        // 000000003464: BF8C0F7A
	s_barrier                                                  // 000000003468: BF8A0000
	v_mfma_f32_16x16x32_fp8_fp8 v[72:75], a[72:73], a[0:1], v[72:75]// 00000000346C: D3F30048 1D220148
	v_mfma_f32_16x16x32_fp8_fp8 v[72:75], a[74:75], a[2:3], v[72:75]// 000000003474: D3F30048 1D22054A
	buffer_load_dwordx4 a[64:67], v54, s[84:87], 0 offen       // 00000000347C: E05C1000 80954036
	v_mfma_f32_16x16x32_fp8_fp8 v[72:75], a[76:77], a[4:5], v[72:75]// 000000003484: D3F30048 1D22094C
	v_mfma_f32_16x16x32_fp8_fp8 v[72:75], a[78:79], a[6:7], v[72:75]// 00000000348C: D3F30048 1D220D4E
	ds_read_b128 a[32:35], v2 offset:8320                      // 000000003494: DBFE2080 20000002
	ds_read_b128 a[36:39], v2 offset:8384                      // 00000000349C: DBFE20C0 24000002
	v_mfma_f32_16x16x32_fp8_fp8 v[76:79], a[72:73], a[8:9], v[76:79]// 0000000034A4: D3F3004C 1D321148
	v_mfma_f32_16x16x32_fp8_fp8 v[76:79], a[74:75], a[10:11], v[76:79]// 0000000034AC: D3F3004C 1D32154A
	buffer_load_dwordx4 a[68:71], v54, s[84:87], 0 offen offset:1024// 0000000034B4: E05C1400 80954436
	v_mfma_f32_16x16x32_fp8_fp8 v[76:79], a[76:77], a[12:13], v[76:79]// 0000000034BC: D3F3004C 1D32194C
	v_mfma_f32_16x16x32_fp8_fp8 v[76:79], a[78:79], a[14:15], v[76:79]// 0000000034C4: D3F3004C 1D321D4E
	ds_read_b128 a[40:43], v2 offset:8832                      // 0000000034CC: DBFE2280 28000002
	ds_read_b128 a[44:47], v2 offset:8896                      // 0000000034D4: DBFE22C0 2C000002
	v_mfma_f32_16x16x32_fp8_fp8 v[80:83], a[72:73], a[16:17], v[80:83]// 0000000034DC: D3F30050 1D422148
	s_add_u32 s60, 0x180, s80                                  // 0000000034E4: 803C50FF 00000180
	s_cmp_lt_u32 s60, s81                                      // 0000000034EC: BF0A513C
	s_cselect_b32 s57, s57, 0                                  // 0000000034F0: 85398039
	v_mfma_f32_16x16x32_fp8_fp8 v[80:83], a[74:75], a[18:19], v[80:83]// 0000000034F4: D3F30050 1D42254A
	s_add_u32 s60, 0x100, s80                                  // 0000000034FC: 803C50FF 00000100
	s_cmp_lt_u32 s60, s81                                      // 000000003504: BF0A513C
	s_cselect_b32 s58, s58, 0                                  // 000000003508: 853A803A
	v_mfma_f32_16x16x32_fp8_fp8 v[80:83], a[76:77], a[20:21], v[80:83]// 00000000350C: D3F30050 1D42294C
	s_add_u32 s60, 0x100, s80                                  // 000000003514: 803C50FF 00000100
	s_cmp_lt_u32 s60, s81                                      // 00000000351C: BF0A513C
	s_cselect_b32 s83, s83, 0                                  // 000000003520: 85538053
	v_mfma_f32_16x16x32_fp8_fp8 v[80:83], a[78:79], a[22:23], v[80:83]// 000000003524: D3F30050 1D422D4E
	ds_read_b128 a[48:51], v2 offset:9344                      // 00000000352C: DBFE2480 30000002
	ds_read_b128 a[52:55], v2 offset:9408                      // 000000003534: DBFE24C0 34000002
	s_add_u32 s24, s58, s24                                    // 00000000353C: 8018183A
	s_addc_u32 s25, 0, s25                                     // 000000003540: 82191980
	v_mfma_f32_16x16x32_fp8_fp8 v[84:87], a[72:73], a[24:25], v[84:87]// 000000003544: D3F30054 1D523148
	s_add_u32 s20, s57, s20                                    // 00000000354C: 80141439
	s_addc_u32 s21, 0, s21                                     // 000000003550: 82151580
	v_mfma_f32_16x16x32_fp8_fp8 v[84:87], a[74:75], a[26:27], v[84:87]// 000000003554: D3F30054 1D52354A
	s_add_u32 s84, s83, s84                                    // 00000000355C: 80545453
	s_addc_u32 s85, 0, s85                                     // 000000003560: 82555580
	v_mfma_f32_16x16x32_fp8_fp8 v[84:87], a[76:77], a[28:29], v[84:87]// 000000003564: D3F30054 1D52394C
	v_mfma_f32_16x16x32_fp8_fp8 v[84:87], a[78:79], a[30:31], v[84:87]// 00000000356C: D3F30054 1D523D4E
	ds_read_b128 a[56:59], v2 offset:9856                      // 000000003574: DBFE2680 38000002
	ds_read_b128 a[60:63], v2 offset:9920                      // 00000000357C: DBFE26C0 3C000002
	s_addk_i32 s80, 0x80                                       // 000000003584: B7500080
	s_cmp_lt_i32 s80, s81                                      // 000000003588: BF045150
	s_cbranch_scc0 label_05B0                                  // 00000000358C: BF8402CC
	s_waitcnt vmcnt(10) lgkmcnt(0)                             // 000000003590: BF8C007A
	v_mfma_f32_16x16x32_fp8_fp8 v[56:59], a[80:81], a[32:33], v[56:59]// 000000003594: D3F30038 1CE24150
	v_mfma_f32_16x16x32_fp8_fp8 v[56:59], a[82:83], a[34:35], v[56:59]// 00000000359C: D3F30038 1CE24552
	buffer_load_dwordx4 a[72:75], v54, s[24:27], 0 offen       // 0000000035A4: E05C1000 80864836
	v_mfma_f32_16x16x32_fp8_fp8 v[56:59], a[84:85], a[36:37], v[56:59]// 0000000035AC: D3F30038 1CE24954
	v_mfma_f32_16x16x32_fp8_fp8 v[56:59], a[86:87], a[38:39], v[56:59]// 0000000035B4: D3F30038 1CE24D56
	v_mfma_f32_16x16x32_fp8_fp8 v[60:63], a[80:81], a[40:41], v[60:63]// 0000000035BC: D3F3003C 1CF25150
	v_mfma_f32_16x16x32_fp8_fp8 v[60:63], a[82:83], a[42:43], v[60:63]// 0000000035C4: D3F3003C 1CF25552
	buffer_load_dwordx4 a[76:79], v54, s[24:27], 0 offen offset:1024// 0000000035CC: E05C1400 80864C36
	buffer_load_dword v46, s[20:23], 0 offen lds               // 0000000035D4: E0511000 8005002E
	s_add_u32 m0, 0x100, s48                                   // 0000000035DC: 807C30FF 00000100
	v_mfma_f32_16x16x32_fp8_fp8 v[60:63], a[84:85], a[44:45], v[60:63]// 0000000035E4: D3F3003C 1CF25954
	v_mfma_f32_16x16x32_fp8_fp8 v[60:63], a[86:87], a[46:47], v[60:63]// 0000000035EC: D3F3003C 1CF25D56
	buffer_load_dword v47, s[20:23], 0 offen lds               // 0000000035F4: E0511000 8005002F
	s_add_u32 m0, 0x200, s48                                   // 0000000035FC: 807C30FF 00000200
	v_mfma_f32_16x16x32_fp8_fp8 v[64:67], a[80:81], a[48:49], v[64:67]// 000000003604: D3F30040 1D026150
	v_mfma_f32_16x16x32_fp8_fp8 v[64:67], a[82:83], a[50:51], v[64:67]// 00000000360C: D3F30040 1D026552
	buffer_load_dword v48, s[20:23], 0 offen lds               // 000000003614: E0511000 80050030
	s_add_u32 m0, 0x300, s48                                   // 00000000361C: 807C30FF 00000300
	v_mfma_f32_16x16x32_fp8_fp8 v[64:67], a[84:85], a[52:53], v[64:67]// 000000003624: D3F30040 1D026954
	v_mfma_f32_16x16x32_fp8_fp8 v[64:67], a[86:87], a[54:55], v[64:67]// 00000000362C: D3F30040 1D026D56
	buffer_load_dword v49, s[20:23], 0 offen lds               // 000000003634: E0511000 80050031
	s_add_u32 m0, 0x400, s48                                   // 00000000363C: 807C30FF 00000400
	v_mfma_f32_16x16x32_fp8_fp8 v[68:71], a[80:81], a[56:57], v[68:71]// 000000003644: D3F30044 1D127150
	v_mfma_f32_16x16x32_fp8_fp8 v[68:71], a[82:83], a[58:59], v[68:71]// 00000000364C: D3F30044 1D127552
	buffer_load_dword v50, s[20:23], 0 offen lds               // 000000003654: E0511000 80050032
	s_add_u32 m0, 0x500, s48                                   // 00000000365C: 807C30FF 00000500
	v_mfma_f32_16x16x32_fp8_fp8 v[68:71], a[84:85], a[60:61], v[68:71]// 000000003664: D3F30044 1D127954
	v_mfma_f32_16x16x32_fp8_fp8 v[68:71], a[86:87], a[62:63], v[68:71]// 00000000366C: D3F30044 1D127D56
	buffer_load_dword v51, s[20:23], 0 offen lds               // 000000003674: E0511000 80050033
	s_add_u32 m0, 0x600, s48                                   // 00000000367C: 807C30FF 00000600
	buffer_load_dword v52, s[20:23], 0 offen lds               // 000000003684: E0511000 80050034
	s_add_u32 m0, 0x700, s48                                   // 00000000368C: 807C30FF 00000700
	buffer_load_dword v53, s[20:23], 0 offen lds               // 000000003694: E0511000 80050035
	s_add_u32 m0, 0, s49                                       // 00000000369C: 807C3180
	s_waitcnt vmcnt(10)                                        // 0000000036A0: BF8C0F7A
	s_barrier                                                  // 0000000036A4: BF8A0000
	v_mfma_f32_16x16x32_fp8_fp8 v[72:75], a[64:65], a[32:33], v[72:75]// 0000000036A8: D3F30048 1D224140
	v_mfma_f32_16x16x32_fp8_fp8 v[72:75], a[66:67], a[34:35], v[72:75]// 0000000036B0: D3F30048 1D224542
	buffer_load_dwordx4 a[80:83], v54, s[84:87], 0 offen       // 0000000036B8: E05C1000 80955036
	v_mfma_f32_16x16x32_fp8_fp8 v[72:75], a[68:69], a[36:37], v[72:75]// 0000000036C0: D3F30048 1D224944
	v_mfma_f32_16x16x32_fp8_fp8 v[72:75], a[70:71], a[38:39], v[72:75]// 0000000036C8: D3F30048 1D224D46
	ds_read_b128 a[0:3], v2 offset:16640                       // 0000000036D0: DBFE4100 00000002
	ds_read_b128 a[4:7], v2 offset:16704                       // 0000000036D8: DBFE4140 04000002
	v_mfma_f32_16x16x32_fp8_fp8 v[76:79], a[64:65], a[40:41], v[76:79]// 0000000036E0: D3F3004C 1D325140
	v_mfma_f32_16x16x32_fp8_fp8 v[76:79], a[66:67], a[42:43], v[76:79]// 0000000036E8: D3F3004C 1D325542
	buffer_load_dwordx4 a[84:87], v54, s[84:87], 0 offen offset:1024// 0000000036F0: E05C1400 80955436
	v_mfma_f32_16x16x32_fp8_fp8 v[76:79], a[68:69], a[44:45], v[76:79]// 0000000036F8: D3F3004C 1D325944
	v_mfma_f32_16x16x32_fp8_fp8 v[76:79], a[70:71], a[46:47], v[76:79]// 000000003700: D3F3004C 1D325D46
	ds_read_b128 a[8:11], v2 offset:17152                      // 000000003708: DBFE4300 08000002
	ds_read_b128 a[12:15], v2 offset:17216                     // 000000003710: DBFE4340 0C000002
	v_mfma_f32_16x16x32_fp8_fp8 v[80:83], a[64:65], a[48:49], v[80:83]// 000000003718: D3F30050 1D426140
	s_add_u32 s60, 0x180, s80                                  // 000000003720: 803C50FF 00000180
	s_cmp_lt_u32 s60, s81                                      // 000000003728: BF0A513C
	s_cselect_b32 s57, s57, 0                                  // 00000000372C: 85398039
	v_mfma_f32_16x16x32_fp8_fp8 v[80:83], a[66:67], a[50:51], v[80:83]// 000000003730: D3F30050 1D426542
	s_add_u32 s60, 0x100, s80                                  // 000000003738: 803C50FF 00000100
	s_cmp_lt_u32 s60, s81                                      // 000000003740: BF0A513C
	s_cselect_b32 s58, s58, 0                                  // 000000003744: 853A803A
	v_mfma_f32_16x16x32_fp8_fp8 v[80:83], a[68:69], a[52:53], v[80:83]// 000000003748: D3F30050 1D426944
	s_add_u32 s60, 0x100, s80                                  // 000000003750: 803C50FF 00000100
	s_cmp_lt_u32 s60, s81                                      // 000000003758: BF0A513C
	s_cselect_b32 s83, s83, 0                                  // 00000000375C: 85538053
	v_mfma_f32_16x16x32_fp8_fp8 v[80:83], a[70:71], a[54:55], v[80:83]// 000000003760: D3F30050 1D426D46
	ds_read_b128 a[16:19], v2 offset:17664                     // 000000003768: DBFE4500 10000002
	ds_read_b128 a[20:23], v2 offset:17728                     // 000000003770: DBFE4540 14000002
	s_add_u32 s24, s58, s24                                    // 000000003778: 8018183A
	s_addc_u32 s25, 0, s25                                     // 00000000377C: 82191980
	v_mfma_f32_16x16x32_fp8_fp8 v[84:87], a[64:65], a[56:57], v[84:87]// 000000003780: D3F30054 1D527140
	s_add_u32 s20, s57, s20                                    // 000000003788: 80141439
	s_addc_u32 s21, 0, s21                                     // 00000000378C: 82151580
	v_mfma_f32_16x16x32_fp8_fp8 v[84:87], a[66:67], a[58:59], v[84:87]// 000000003790: D3F30054 1D527542
	s_add_u32 s84, s83, s84                                    // 000000003798: 80545453
	s_addc_u32 s85, 0, s85                                     // 00000000379C: 82555580
	v_mfma_f32_16x16x32_fp8_fp8 v[84:87], a[68:69], a[60:61], v[84:87]// 0000000037A0: D3F30054 1D527944
	v_mfma_f32_16x16x32_fp8_fp8 v[84:87], a[70:71], a[62:63], v[84:87]// 0000000037A8: D3F30054 1D527D46
	ds_read_b128 a[24:27], v2 offset:18176                     // 0000000037B0: DBFE4700 18000002
	ds_read_b128 a[28:31], v2 offset:18240                     // 0000000037B8: DBFE4740 1C000002
	s_addk_i32 s80, 0x80                                       // 0000000037C0: B7500080
	s_cmp_lt_i32 s80, s81                                      // 0000000037C4: BF045150
	s_cbranch_scc0 label_05B0                                  // 0000000037C8: BF84023D
	s_waitcnt vmcnt(10) lgkmcnt(0)                             // 0000000037CC: BF8C007A
	v_mfma_f32_16x16x32_fp8_fp8 v[56:59], a[72:73], a[0:1], v[56:59]// 0000000037D0: D3F30038 1CE20148
	v_mfma_f32_16x16x32_fp8_fp8 v[56:59], a[74:75], a[2:3], v[56:59]// 0000000037D8: D3F30038 1CE2054A
	buffer_load_dwordx4 a[64:67], v54, s[24:27], 0 offen       // 0000000037E0: E05C1000 80864036
	v_mfma_f32_16x16x32_fp8_fp8 v[56:59], a[76:77], a[4:5], v[56:59]// 0000000037E8: D3F30038 1CE2094C
	v_mfma_f32_16x16x32_fp8_fp8 v[56:59], a[78:79], a[6:7], v[56:59]// 0000000037F0: D3F30038 1CE20D4E
	v_mfma_f32_16x16x32_fp8_fp8 v[60:63], a[72:73], a[8:9], v[60:63]// 0000000037F8: D3F3003C 1CF21148
	v_mfma_f32_16x16x32_fp8_fp8 v[60:63], a[74:75], a[10:11], v[60:63]// 000000003800: D3F3003C 1CF2154A
	buffer_load_dwordx4 a[68:71], v54, s[24:27], 0 offen offset:1024// 000000003808: E05C1400 80864436
	buffer_load_dword v46, s[20:23], 0 offen lds               // 000000003810: E0511000 8005002E
	s_add_u32 m0, 0x100, s49                                   // 000000003818: 807C31FF 00000100
	v_mfma_f32_16x16x32_fp8_fp8 v[60:63], a[76:77], a[12:13], v[60:63]// 000000003820: D3F3003C 1CF2194C
	v_mfma_f32_16x16x32_fp8_fp8 v[60:63], a[78:79], a[14:15], v[60:63]// 000000003828: D3F3003C 1CF21D4E
	buffer_load_dword v47, s[20:23], 0 offen lds               // 000000003830: E0511000 8005002F
	s_add_u32 m0, 0x200, s49                                   // 000000003838: 807C31FF 00000200
	v_mfma_f32_16x16x32_fp8_fp8 v[64:67], a[72:73], a[16:17], v[64:67]// 000000003840: D3F30040 1D022148
	v_mfma_f32_16x16x32_fp8_fp8 v[64:67], a[74:75], a[18:19], v[64:67]// 000000003848: D3F30040 1D02254A
	buffer_load_dword v48, s[20:23], 0 offen lds               // 000000003850: E0511000 80050030
	s_add_u32 m0, 0x300, s49                                   // 000000003858: 807C31FF 00000300
	v_mfma_f32_16x16x32_fp8_fp8 v[64:67], a[76:77], a[20:21], v[64:67]// 000000003860: D3F30040 1D02294C
	v_mfma_f32_16x16x32_fp8_fp8 v[64:67], a[78:79], a[22:23], v[64:67]// 000000003868: D3F30040 1D022D4E
	buffer_load_dword v49, s[20:23], 0 offen lds               // 000000003870: E0511000 80050031
	s_add_u32 m0, 0x400, s49                                   // 000000003878: 807C31FF 00000400
	v_mfma_f32_16x16x32_fp8_fp8 v[68:71], a[72:73], a[24:25], v[68:71]// 000000003880: D3F30044 1D123148
	v_mfma_f32_16x16x32_fp8_fp8 v[68:71], a[74:75], a[26:27], v[68:71]// 000000003888: D3F30044 1D12354A
	buffer_load_dword v50, s[20:23], 0 offen lds               // 000000003890: E0511000 80050032
	s_add_u32 m0, 0x500, s49                                   // 000000003898: 807C31FF 00000500
	v_mfma_f32_16x16x32_fp8_fp8 v[68:71], a[76:77], a[28:29], v[68:71]// 0000000038A0: D3F30044 1D12394C
	v_mfma_f32_16x16x32_fp8_fp8 v[68:71], a[78:79], a[30:31], v[68:71]// 0000000038A8: D3F30044 1D123D4E
	buffer_load_dword v51, s[20:23], 0 offen lds               // 0000000038B0: E0511000 80050033
	s_add_u32 m0, 0x600, s49                                   // 0000000038B8: 807C31FF 00000600
	buffer_load_dword v52, s[20:23], 0 offen lds               // 0000000038C0: E0511000 80050034
	s_add_u32 m0, 0x700, s49                                   // 0000000038C8: 807C31FF 00000700
	buffer_load_dword v53, s[20:23], 0 offen lds               // 0000000038D0: E0511000 80050035
	s_add_u32 m0, 0, s50                                       // 0000000038D8: 807C3280
	s_waitcnt vmcnt(10)                                        // 0000000038DC: BF8C0F7A
	s_barrier                                                  // 0000000038E0: BF8A0000
	v_mfma_f32_16x16x32_fp8_fp8 v[72:75], a[80:81], a[0:1], v[72:75]// 0000000038E4: D3F30048 1D220150
	v_mfma_f32_16x16x32_fp8_fp8 v[72:75], a[82:83], a[2:3], v[72:75]// 0000000038EC: D3F30048 1D220552
	buffer_load_dwordx4 a[72:75], v54, s[84:87], 0 offen       // 0000000038F4: E05C1000 80954836
	v_mfma_f32_16x16x32_fp8_fp8 v[72:75], a[84:85], a[4:5], v[72:75]// 0000000038FC: D3F30048 1D220954
	v_mfma_f32_16x16x32_fp8_fp8 v[72:75], a[86:87], a[6:7], v[72:75]// 000000003904: D3F30048 1D220D56
	ds_read_b128 a[32:35], v2                                  // 00000000390C: DBFE0000 20000002
	ds_read_b128 a[36:39], v2 offset:64                        // 000000003914: DBFE0040 24000002
	v_mfma_f32_16x16x32_fp8_fp8 v[76:79], a[80:81], a[8:9], v[76:79]// 00000000391C: D3F3004C 1D321150
	v_mfma_f32_16x16x32_fp8_fp8 v[76:79], a[82:83], a[10:11], v[76:79]// 000000003924: D3F3004C 1D321552
	buffer_load_dwordx4 a[76:79], v54, s[84:87], 0 offen offset:1024// 00000000392C: E05C1400 80954C36
	v_mfma_f32_16x16x32_fp8_fp8 v[76:79], a[84:85], a[12:13], v[76:79]// 000000003934: D3F3004C 1D321954
	v_mfma_f32_16x16x32_fp8_fp8 v[76:79], a[86:87], a[14:15], v[76:79]// 00000000393C: D3F3004C 1D321D56
	ds_read_b128 a[40:43], v2 offset:512                       // 000000003944: DBFE0200 28000002
	ds_read_b128 a[44:47], v2 offset:576                       // 00000000394C: DBFE0240 2C000002
	v_mfma_f32_16x16x32_fp8_fp8 v[80:83], a[80:81], a[16:17], v[80:83]// 000000003954: D3F30050 1D422150
	s_add_u32 s60, 0x180, s80                                  // 00000000395C: 803C50FF 00000180
	s_cmp_lt_u32 s60, s81                                      // 000000003964: BF0A513C
	s_cselect_b32 s57, s57, 0                                  // 000000003968: 85398039
	v_mfma_f32_16x16x32_fp8_fp8 v[80:83], a[82:83], a[18:19], v[80:83]// 00000000396C: D3F30050 1D422552
	s_add_u32 s60, 0x100, s80                                  // 000000003974: 803C50FF 00000100
	s_cmp_lt_u32 s60, s81                                      // 00000000397C: BF0A513C
	s_cselect_b32 s58, s58, 0                                  // 000000003980: 853A803A
	v_mfma_f32_16x16x32_fp8_fp8 v[80:83], a[84:85], a[20:21], v[80:83]// 000000003984: D3F30050 1D422954
	s_add_u32 s60, 0x100, s80                                  // 00000000398C: 803C50FF 00000100
	s_cmp_lt_u32 s60, s81                                      // 000000003994: BF0A513C
	s_cselect_b32 s83, s83, 0                                  // 000000003998: 85538053
	v_mfma_f32_16x16x32_fp8_fp8 v[80:83], a[86:87], a[22:23], v[80:83]// 00000000399C: D3F30050 1D422D56
	ds_read_b128 a[48:51], v2 offset:1024                      // 0000000039A4: DBFE0400 30000002
	ds_read_b128 a[52:55], v2 offset:1088                      // 0000000039AC: DBFE0440 34000002
	s_add_u32 s24, s58, s24                                    // 0000000039B4: 8018183A
	s_addc_u32 s25, 0, s25                                     // 0000000039B8: 82191980
	v_mfma_f32_16x16x32_fp8_fp8 v[84:87], a[80:81], a[24:25], v[84:87]// 0000000039BC: D3F30054 1D523150
	s_add_u32 s20, s57, s20                                    // 0000000039C4: 80141439
	s_addc_u32 s21, 0, s21                                     // 0000000039C8: 82151580
	v_mfma_f32_16x16x32_fp8_fp8 v[84:87], a[82:83], a[26:27], v[84:87]// 0000000039CC: D3F30054 1D523552
	s_add_u32 s84, s83, s84                                    // 0000000039D4: 80545453
	s_addc_u32 s85, 0, s85                                     // 0000000039D8: 82555580
	v_mfma_f32_16x16x32_fp8_fp8 v[84:87], a[84:85], a[28:29], v[84:87]// 0000000039DC: D3F30054 1D523954
	v_mfma_f32_16x16x32_fp8_fp8 v[84:87], a[86:87], a[30:31], v[84:87]// 0000000039E4: D3F30054 1D523D56
	ds_read_b128 a[56:59], v2 offset:1536                      // 0000000039EC: DBFE0600 38000002
	ds_read_b128 a[60:63], v2 offset:1600                      // 0000000039F4: DBFE0640 3C000002
	s_addk_i32 s80, 0x80                                       // 0000000039FC: B7500080
	s_cmp_lt_i32 s80, s81                                      // 000000003A00: BF045150
	s_cbranch_scc0 label_05B0                                  // 000000003A04: BF8401AE
	s_waitcnt vmcnt(10) lgkmcnt(0)                             // 000000003A08: BF8C007A
	v_mfma_f32_16x16x32_fp8_fp8 v[56:59], a[64:65], a[32:33], v[56:59]// 000000003A0C: D3F30038 1CE24140
	v_mfma_f32_16x16x32_fp8_fp8 v[56:59], a[66:67], a[34:35], v[56:59]// 000000003A14: D3F30038 1CE24542
	buffer_load_dwordx4 a[80:83], v54, s[24:27], 0 offen       // 000000003A1C: E05C1000 80865036
	v_mfma_f32_16x16x32_fp8_fp8 v[56:59], a[68:69], a[36:37], v[56:59]// 000000003A24: D3F30038 1CE24944
	v_mfma_f32_16x16x32_fp8_fp8 v[56:59], a[70:71], a[38:39], v[56:59]// 000000003A2C: D3F30038 1CE24D46
	v_mfma_f32_16x16x32_fp8_fp8 v[60:63], a[64:65], a[40:41], v[60:63]// 000000003A34: D3F3003C 1CF25140
	v_mfma_f32_16x16x32_fp8_fp8 v[60:63], a[66:67], a[42:43], v[60:63]// 000000003A3C: D3F3003C 1CF25542
	buffer_load_dwordx4 a[84:87], v54, s[24:27], 0 offen offset:1024// 000000003A44: E05C1400 80865436
	buffer_load_dword v46, s[20:23], 0 offen lds               // 000000003A4C: E0511000 8005002E
	s_add_u32 m0, 0x100, s50                                   // 000000003A54: 807C32FF 00000100
	v_mfma_f32_16x16x32_fp8_fp8 v[60:63], a[68:69], a[44:45], v[60:63]// 000000003A5C: D3F3003C 1CF25944
	v_mfma_f32_16x16x32_fp8_fp8 v[60:63], a[70:71], a[46:47], v[60:63]// 000000003A64: D3F3003C 1CF25D46
	buffer_load_dword v47, s[20:23], 0 offen lds               // 000000003A6C: E0511000 8005002F
	s_add_u32 m0, 0x200, s50                                   // 000000003A74: 807C32FF 00000200
	v_mfma_f32_16x16x32_fp8_fp8 v[64:67], a[64:65], a[48:49], v[64:67]// 000000003A7C: D3F30040 1D026140
	v_mfma_f32_16x16x32_fp8_fp8 v[64:67], a[66:67], a[50:51], v[64:67]// 000000003A84: D3F30040 1D026542
	buffer_load_dword v48, s[20:23], 0 offen lds               // 000000003A8C: E0511000 80050030
	s_add_u32 m0, 0x300, s50                                   // 000000003A94: 807C32FF 00000300
	v_mfma_f32_16x16x32_fp8_fp8 v[64:67], a[68:69], a[52:53], v[64:67]// 000000003A9C: D3F30040 1D026944
	v_mfma_f32_16x16x32_fp8_fp8 v[64:67], a[70:71], a[54:55], v[64:67]// 000000003AA4: D3F30040 1D026D46
	buffer_load_dword v49, s[20:23], 0 offen lds               // 000000003AAC: E0511000 80050031
	s_add_u32 m0, 0x400, s50                                   // 000000003AB4: 807C32FF 00000400
	v_mfma_f32_16x16x32_fp8_fp8 v[68:71], a[64:65], a[56:57], v[68:71]// 000000003ABC: D3F30044 1D127140
	v_mfma_f32_16x16x32_fp8_fp8 v[68:71], a[66:67], a[58:59], v[68:71]// 000000003AC4: D3F30044 1D127542
	buffer_load_dword v50, s[20:23], 0 offen lds               // 000000003ACC: E0511000 80050032
	s_add_u32 m0, 0x500, s50                                   // 000000003AD4: 807C32FF 00000500
	v_mfma_f32_16x16x32_fp8_fp8 v[68:71], a[68:69], a[60:61], v[68:71]// 000000003ADC: D3F30044 1D127944
	v_mfma_f32_16x16x32_fp8_fp8 v[68:71], a[70:71], a[62:63], v[68:71]// 000000003AE4: D3F30044 1D127D46
	buffer_load_dword v51, s[20:23], 0 offen lds               // 000000003AEC: E0511000 80050033
	s_add_u32 m0, 0x600, s50                                   // 000000003AF4: 807C32FF 00000600
	buffer_load_dword v52, s[20:23], 0 offen lds               // 000000003AFC: E0511000 80050034
	s_add_u32 m0, 0x700, s50                                   // 000000003B04: 807C32FF 00000700
	buffer_load_dword v53, s[20:23], 0 offen lds               // 000000003B0C: E0511000 80050035
	s_add_u32 m0, 0, s48                                       // 000000003B14: 807C3080
	s_waitcnt vmcnt(10)                                        // 000000003B18: BF8C0F7A
	s_barrier                                                  // 000000003B1C: BF8A0000
	v_mfma_f32_16x16x32_fp8_fp8 v[72:75], a[72:73], a[32:33], v[72:75]// 000000003B20: D3F30048 1D224148
	v_mfma_f32_16x16x32_fp8_fp8 v[72:75], a[74:75], a[34:35], v[72:75]// 000000003B28: D3F30048 1D22454A
	buffer_load_dwordx4 a[64:67], v54, s[84:87], 0 offen       // 000000003B30: E05C1000 80954036
	v_mfma_f32_16x16x32_fp8_fp8 v[72:75], a[76:77], a[36:37], v[72:75]// 000000003B38: D3F30048 1D22494C
	v_mfma_f32_16x16x32_fp8_fp8 v[72:75], a[78:79], a[38:39], v[72:75]// 000000003B40: D3F30048 1D224D4E
	ds_read_b128 a[0:3], v2 offset:8320                        // 000000003B48: DBFE2080 00000002
	ds_read_b128 a[4:7], v2 offset:8384                        // 000000003B50: DBFE20C0 04000002
	v_mfma_f32_16x16x32_fp8_fp8 v[76:79], a[72:73], a[40:41], v[76:79]// 000000003B58: D3F3004C 1D325148
	v_mfma_f32_16x16x32_fp8_fp8 v[76:79], a[74:75], a[42:43], v[76:79]// 000000003B60: D3F3004C 1D32554A
	buffer_load_dwordx4 a[68:71], v54, s[84:87], 0 offen offset:1024// 000000003B68: E05C1400 80954436
	v_mfma_f32_16x16x32_fp8_fp8 v[76:79], a[76:77], a[44:45], v[76:79]// 000000003B70: D3F3004C 1D32594C
	v_mfma_f32_16x16x32_fp8_fp8 v[76:79], a[78:79], a[46:47], v[76:79]// 000000003B78: D3F3004C 1D325D4E
	ds_read_b128 a[8:11], v2 offset:8832                       // 000000003B80: DBFE2280 08000002
	ds_read_b128 a[12:15], v2 offset:8896                      // 000000003B88: DBFE22C0 0C000002
	v_mfma_f32_16x16x32_fp8_fp8 v[80:83], a[72:73], a[48:49], v[80:83]// 000000003B90: D3F30050 1D426148
	s_add_u32 s60, 0x180, s80                                  // 000000003B98: 803C50FF 00000180
	s_cmp_lt_u32 s60, s81                                      // 000000003BA0: BF0A513C
	s_cselect_b32 s57, s57, 0                                  // 000000003BA4: 85398039
	v_mfma_f32_16x16x32_fp8_fp8 v[80:83], a[74:75], a[50:51], v[80:83]// 000000003BA8: D3F30050 1D42654A
	s_add_u32 s60, 0x100, s80                                  // 000000003BB0: 803C50FF 00000100
	s_cmp_lt_u32 s60, s81                                      // 000000003BB8: BF0A513C
	s_cselect_b32 s58, s58, 0                                  // 000000003BBC: 853A803A
	v_mfma_f32_16x16x32_fp8_fp8 v[80:83], a[76:77], a[52:53], v[80:83]// 000000003BC0: D3F30050 1D42694C
	s_add_u32 s60, 0x100, s80                                  // 000000003BC8: 803C50FF 00000100
	s_cmp_lt_u32 s60, s81                                      // 000000003BD0: BF0A513C
	s_cselect_b32 s83, s83, 0                                  // 000000003BD4: 85538053
	v_mfma_f32_16x16x32_fp8_fp8 v[80:83], a[78:79], a[54:55], v[80:83]// 000000003BD8: D3F30050 1D426D4E
	ds_read_b128 a[16:19], v2 offset:9344                      // 000000003BE0: DBFE2480 10000002
	ds_read_b128 a[20:23], v2 offset:9408                      // 000000003BE8: DBFE24C0 14000002
	s_add_u32 s24, s58, s24                                    // 000000003BF0: 8018183A
	s_addc_u32 s25, 0, s25                                     // 000000003BF4: 82191980
	v_mfma_f32_16x16x32_fp8_fp8 v[84:87], a[72:73], a[56:57], v[84:87]// 000000003BF8: D3F30054 1D527148
	s_add_u32 s20, s57, s20                                    // 000000003C00: 80141439
	s_addc_u32 s21, 0, s21                                     // 000000003C04: 82151580
	v_mfma_f32_16x16x32_fp8_fp8 v[84:87], a[74:75], a[58:59], v[84:87]// 000000003C08: D3F30054 1D52754A
	s_add_u32 s84, s83, s84                                    // 000000003C10: 80545453
	s_addc_u32 s85, 0, s85                                     // 000000003C14: 82555580
	v_mfma_f32_16x16x32_fp8_fp8 v[84:87], a[76:77], a[60:61], v[84:87]// 000000003C18: D3F30054 1D52794C
	v_mfma_f32_16x16x32_fp8_fp8 v[84:87], a[78:79], a[62:63], v[84:87]// 000000003C20: D3F30054 1D527D4E
	ds_read_b128 a[24:27], v2 offset:9856                      // 000000003C28: DBFE2680 18000002
	ds_read_b128 a[28:31], v2 offset:9920                      // 000000003C30: DBFE26C0 1C000002
	s_addk_i32 s80, 0x80                                       // 000000003C38: B7500080
	s_cmp_lt_i32 s80, s81                                      // 000000003C3C: BF045150
	s_cbranch_scc0 label_05B0                                  // 000000003C40: BF84011F
	s_waitcnt vmcnt(10) lgkmcnt(0)                             // 000000003C44: BF8C007A
	v_mfma_f32_16x16x32_fp8_fp8 v[56:59], a[80:81], a[0:1], v[56:59]// 000000003C48: D3F30038 1CE20150
	v_mfma_f32_16x16x32_fp8_fp8 v[56:59], a[82:83], a[2:3], v[56:59]// 000000003C50: D3F30038 1CE20552
	buffer_load_dwordx4 a[72:75], v54, s[24:27], 0 offen       // 000000003C58: E05C1000 80864836
	v_mfma_f32_16x16x32_fp8_fp8 v[56:59], a[84:85], a[4:5], v[56:59]// 000000003C60: D3F30038 1CE20954
	v_mfma_f32_16x16x32_fp8_fp8 v[56:59], a[86:87], a[6:7], v[56:59]// 000000003C68: D3F30038 1CE20D56
	v_mfma_f32_16x16x32_fp8_fp8 v[60:63], a[80:81], a[8:9], v[60:63]// 000000003C70: D3F3003C 1CF21150
	v_mfma_f32_16x16x32_fp8_fp8 v[60:63], a[82:83], a[10:11], v[60:63]// 000000003C78: D3F3003C 1CF21552
	buffer_load_dwordx4 a[76:79], v54, s[24:27], 0 offen offset:1024// 000000003C80: E05C1400 80864C36
	buffer_load_dword v46, s[20:23], 0 offen lds               // 000000003C88: E0511000 8005002E
	s_add_u32 m0, 0x100, s48                                   // 000000003C90: 807C30FF 00000100
	v_mfma_f32_16x16x32_fp8_fp8 v[60:63], a[84:85], a[12:13], v[60:63]// 000000003C98: D3F3003C 1CF21954
	v_mfma_f32_16x16x32_fp8_fp8 v[60:63], a[86:87], a[14:15], v[60:63]// 000000003CA0: D3F3003C 1CF21D56
	buffer_load_dword v47, s[20:23], 0 offen lds               // 000000003CA8: E0511000 8005002F
	s_add_u32 m0, 0x200, s48                                   // 000000003CB0: 807C30FF 00000200
	v_mfma_f32_16x16x32_fp8_fp8 v[64:67], a[80:81], a[16:17], v[64:67]// 000000003CB8: D3F30040 1D022150
	v_mfma_f32_16x16x32_fp8_fp8 v[64:67], a[82:83], a[18:19], v[64:67]// 000000003CC0: D3F30040 1D022552
	buffer_load_dword v48, s[20:23], 0 offen lds               // 000000003CC8: E0511000 80050030
	s_add_u32 m0, 0x300, s48                                   // 000000003CD0: 807C30FF 00000300
	v_mfma_f32_16x16x32_fp8_fp8 v[64:67], a[84:85], a[20:21], v[64:67]// 000000003CD8: D3F30040 1D022954
	v_mfma_f32_16x16x32_fp8_fp8 v[64:67], a[86:87], a[22:23], v[64:67]// 000000003CE0: D3F30040 1D022D56
	buffer_load_dword v49, s[20:23], 0 offen lds               // 000000003CE8: E0511000 80050031
	s_add_u32 m0, 0x400, s48                                   // 000000003CF0: 807C30FF 00000400
	v_mfma_f32_16x16x32_fp8_fp8 v[68:71], a[80:81], a[24:25], v[68:71]// 000000003CF8: D3F30044 1D123150
	v_mfma_f32_16x16x32_fp8_fp8 v[68:71], a[82:83], a[26:27], v[68:71]// 000000003D00: D3F30044 1D123552
	buffer_load_dword v50, s[20:23], 0 offen lds               // 000000003D08: E0511000 80050032
	s_add_u32 m0, 0x500, s48                                   // 000000003D10: 807C30FF 00000500
	v_mfma_f32_16x16x32_fp8_fp8 v[68:71], a[84:85], a[28:29], v[68:71]// 000000003D18: D3F30044 1D123954
	v_mfma_f32_16x16x32_fp8_fp8 v[68:71], a[86:87], a[30:31], v[68:71]// 000000003D20: D3F30044 1D123D56
	buffer_load_dword v51, s[20:23], 0 offen lds               // 000000003D28: E0511000 80050033
	s_add_u32 m0, 0x600, s48                                   // 000000003D30: 807C30FF 00000600
	buffer_load_dword v52, s[20:23], 0 offen lds               // 000000003D38: E0511000 80050034
	s_add_u32 m0, 0x700, s48                                   // 000000003D40: 807C30FF 00000700
	buffer_load_dword v53, s[20:23], 0 offen lds               // 000000003D48: E0511000 80050035
	s_add_u32 m0, 0, s49                                       // 000000003D50: 807C3180
	s_waitcnt vmcnt(10)                                        // 000000003D54: BF8C0F7A
	s_barrier                                                  // 000000003D58: BF8A0000
	v_mfma_f32_16x16x32_fp8_fp8 v[72:75], a[64:65], a[0:1], v[72:75]// 000000003D5C: D3F30048 1D220140
	v_mfma_f32_16x16x32_fp8_fp8 v[72:75], a[66:67], a[2:3], v[72:75]// 000000003D64: D3F30048 1D220542
	buffer_load_dwordx4 a[80:83], v54, s[84:87], 0 offen       // 000000003D6C: E05C1000 80955036
	v_mfma_f32_16x16x32_fp8_fp8 v[72:75], a[68:69], a[4:5], v[72:75]// 000000003D74: D3F30048 1D220944
	v_mfma_f32_16x16x32_fp8_fp8 v[72:75], a[70:71], a[6:7], v[72:75]// 000000003D7C: D3F30048 1D220D46
	ds_read_b128 a[32:35], v2 offset:16640                     // 000000003D84: DBFE4100 20000002
	ds_read_b128 a[36:39], v2 offset:16704                     // 000000003D8C: DBFE4140 24000002
	v_mfma_f32_16x16x32_fp8_fp8 v[76:79], a[64:65], a[8:9], v[76:79]// 000000003D94: D3F3004C 1D321140
	v_mfma_f32_16x16x32_fp8_fp8 v[76:79], a[66:67], a[10:11], v[76:79]// 000000003D9C: D3F3004C 1D321542
	buffer_load_dwordx4 a[84:87], v54, s[84:87], 0 offen offset:1024// 000000003DA4: E05C1400 80955436
	v_mfma_f32_16x16x32_fp8_fp8 v[76:79], a[68:69], a[12:13], v[76:79]// 000000003DAC: D3F3004C 1D321944
	v_mfma_f32_16x16x32_fp8_fp8 v[76:79], a[70:71], a[14:15], v[76:79]// 000000003DB4: D3F3004C 1D321D46
	ds_read_b128 a[40:43], v2 offset:17152                     // 000000003DBC: DBFE4300 28000002
	ds_read_b128 a[44:47], v2 offset:17216                     // 000000003DC4: DBFE4340 2C000002
	v_mfma_f32_16x16x32_fp8_fp8 v[80:83], a[64:65], a[16:17], v[80:83]// 000000003DCC: D3F30050 1D422140
	s_add_u32 s60, 0x180, s80                                  // 000000003DD4: 803C50FF 00000180
	s_cmp_lt_u32 s60, s81                                      // 000000003DDC: BF0A513C
	s_cselect_b32 s57, s57, 0                                  // 000000003DE0: 85398039
	v_mfma_f32_16x16x32_fp8_fp8 v[80:83], a[66:67], a[18:19], v[80:83]// 000000003DE4: D3F30050 1D422542
	s_add_u32 s60, 0x100, s80                                  // 000000003DEC: 803C50FF 00000100
	s_cmp_lt_u32 s60, s81                                      // 000000003DF4: BF0A513C
	s_cselect_b32 s58, s58, 0                                  // 000000003DF8: 853A803A
	v_mfma_f32_16x16x32_fp8_fp8 v[80:83], a[68:69], a[20:21], v[80:83]// 000000003DFC: D3F30050 1D422944
	s_add_u32 s60, 0x100, s80                                  // 000000003E04: 803C50FF 00000100
	s_cmp_lt_u32 s60, s81                                      // 000000003E0C: BF0A513C
	s_cselect_b32 s83, s83, 0                                  // 000000003E10: 85538053
	v_mfma_f32_16x16x32_fp8_fp8 v[80:83], a[70:71], a[22:23], v[80:83]// 000000003E14: D3F30050 1D422D46
	ds_read_b128 a[48:51], v2 offset:17664                     // 000000003E1C: DBFE4500 30000002
	ds_read_b128 a[52:55], v2 offset:17728                     // 000000003E24: DBFE4540 34000002
	s_add_u32 s24, s58, s24                                    // 000000003E2C: 8018183A
	s_addc_u32 s25, 0, s25                                     // 000000003E30: 82191980
	v_mfma_f32_16x16x32_fp8_fp8 v[84:87], a[64:65], a[24:25], v[84:87]// 000000003E34: D3F30054 1D523140
	s_add_u32 s20, s57, s20                                    // 000000003E3C: 80141439
	s_addc_u32 s21, 0, s21                                     // 000000003E40: 82151580
	v_mfma_f32_16x16x32_fp8_fp8 v[84:87], a[66:67], a[26:27], v[84:87]// 000000003E44: D3F30054 1D523542
	s_add_u32 s84, s83, s84                                    // 000000003E4C: 80545453
	s_addc_u32 s85, 0, s85                                     // 000000003E50: 82555580
	v_mfma_f32_16x16x32_fp8_fp8 v[84:87], a[68:69], a[28:29], v[84:87]// 000000003E54: D3F30054 1D523944
	v_mfma_f32_16x16x32_fp8_fp8 v[84:87], a[70:71], a[30:31], v[84:87]// 000000003E5C: D3F30054 1D523D46
	ds_read_b128 a[56:59], v2 offset:18176                     // 000000003E64: DBFE4700 38000002
	ds_read_b128 a[60:63], v2 offset:18240                     // 000000003E6C: DBFE4740 3C000002
	s_addk_i32 s80, 0x80                                       // 000000003E74: B7500080
	s_cmp_lt_i32 s80, s81                                      // 000000003E78: BF045150
	s_cbranch_scc0 label_05B0                                  // 000000003E7C: BF840090
	s_waitcnt vmcnt(10) lgkmcnt(0)                             // 000000003E80: BF8C007A
	v_mfma_f32_16x16x32_fp8_fp8 v[56:59], a[72:73], a[32:33], v[56:59]// 000000003E84: D3F30038 1CE24148
	v_mfma_f32_16x16x32_fp8_fp8 v[56:59], a[74:75], a[34:35], v[56:59]// 000000003E8C: D3F30038 1CE2454A
	buffer_load_dwordx4 a[64:67], v54, s[24:27], 0 offen       // 000000003E94: E05C1000 80864036
	v_mfma_f32_16x16x32_fp8_fp8 v[56:59], a[76:77], a[36:37], v[56:59]// 000000003E9C: D3F30038 1CE2494C
	v_mfma_f32_16x16x32_fp8_fp8 v[56:59], a[78:79], a[38:39], v[56:59]// 000000003EA4: D3F30038 1CE24D4E
	v_mfma_f32_16x16x32_fp8_fp8 v[60:63], a[72:73], a[40:41], v[60:63]// 000000003EAC: D3F3003C 1CF25148
	v_mfma_f32_16x16x32_fp8_fp8 v[60:63], a[74:75], a[42:43], v[60:63]// 000000003EB4: D3F3003C 1CF2554A
	buffer_load_dwordx4 a[68:71], v54, s[24:27], 0 offen offset:1024// 000000003EBC: E05C1400 80864436
	buffer_load_dword v46, s[20:23], 0 offen lds               // 000000003EC4: E0511000 8005002E
	s_add_u32 m0, 0x100, s49                                   // 000000003ECC: 807C31FF 00000100
	v_mfma_f32_16x16x32_fp8_fp8 v[60:63], a[76:77], a[44:45], v[60:63]// 000000003ED4: D3F3003C 1CF2594C
	v_mfma_f32_16x16x32_fp8_fp8 v[60:63], a[78:79], a[46:47], v[60:63]// 000000003EDC: D3F3003C 1CF25D4E
	buffer_load_dword v47, s[20:23], 0 offen lds               // 000000003EE4: E0511000 8005002F
	s_add_u32 m0, 0x200, s49                                   // 000000003EEC: 807C31FF 00000200
	v_mfma_f32_16x16x32_fp8_fp8 v[64:67], a[72:73], a[48:49], v[64:67]// 000000003EF4: D3F30040 1D026148
	v_mfma_f32_16x16x32_fp8_fp8 v[64:67], a[74:75], a[50:51], v[64:67]// 000000003EFC: D3F30040 1D02654A
	buffer_load_dword v48, s[20:23], 0 offen lds               // 000000003F04: E0511000 80050030
	s_add_u32 m0, 0x300, s49                                   // 000000003F0C: 807C31FF 00000300
	v_mfma_f32_16x16x32_fp8_fp8 v[64:67], a[76:77], a[52:53], v[64:67]// 000000003F14: D3F30040 1D02694C
	v_mfma_f32_16x16x32_fp8_fp8 v[64:67], a[78:79], a[54:55], v[64:67]// 000000003F1C: D3F30040 1D026D4E
	buffer_load_dword v49, s[20:23], 0 offen lds               // 000000003F24: E0511000 80050031
	s_add_u32 m0, 0x400, s49                                   // 000000003F2C: 807C31FF 00000400
	v_mfma_f32_16x16x32_fp8_fp8 v[68:71], a[72:73], a[56:57], v[68:71]// 000000003F34: D3F30044 1D127148
	v_mfma_f32_16x16x32_fp8_fp8 v[68:71], a[74:75], a[58:59], v[68:71]// 000000003F3C: D3F30044 1D12754A
	buffer_load_dword v50, s[20:23], 0 offen lds               // 000000003F44: E0511000 80050032
	s_add_u32 m0, 0x500, s49                                   // 000000003F4C: 807C31FF 00000500
	v_mfma_f32_16x16x32_fp8_fp8 v[68:71], a[76:77], a[60:61], v[68:71]// 000000003F54: D3F30044 1D12794C
	v_mfma_f32_16x16x32_fp8_fp8 v[68:71], a[78:79], a[62:63], v[68:71]// 000000003F5C: D3F30044 1D127D4E
	buffer_load_dword v51, s[20:23], 0 offen lds               // 000000003F64: E0511000 80050033
	s_add_u32 m0, 0x600, s49                                   // 000000003F6C: 807C31FF 00000600
	buffer_load_dword v52, s[20:23], 0 offen lds               // 000000003F74: E0511000 80050034
	s_add_u32 m0, 0x700, s49                                   // 000000003F7C: 807C31FF 00000700
	buffer_load_dword v53, s[20:23], 0 offen lds               // 000000003F84: E0511000 80050035
	s_add_u32 m0, 0, s50                                       // 000000003F8C: 807C3280
	s_waitcnt vmcnt(10)                                        // 000000003F90: BF8C0F7A
	s_barrier                                                  // 000000003F94: BF8A0000
	v_mfma_f32_16x16x32_fp8_fp8 v[72:75], a[80:81], a[32:33], v[72:75]// 000000003F98: D3F30048 1D224150
	v_mfma_f32_16x16x32_fp8_fp8 v[72:75], a[82:83], a[34:35], v[72:75]// 000000003FA0: D3F30048 1D224552
	buffer_load_dwordx4 a[72:75], v54, s[84:87], 0 offen       // 000000003FA8: E05C1000 80954836
	v_mfma_f32_16x16x32_fp8_fp8 v[72:75], a[84:85], a[36:37], v[72:75]// 000000003FB0: D3F30048 1D224954
	v_mfma_f32_16x16x32_fp8_fp8 v[72:75], a[86:87], a[38:39], v[72:75]// 000000003FB8: D3F30048 1D224D56
	ds_read_b128 a[0:3], v2                                    // 000000003FC0: DBFE0000 00000002
	ds_read_b128 a[4:7], v2 offset:64                          // 000000003FC8: DBFE0040 04000002
	v_mfma_f32_16x16x32_fp8_fp8 v[76:79], a[80:81], a[40:41], v[76:79]// 000000003FD0: D3F3004C 1D325150
	v_mfma_f32_16x16x32_fp8_fp8 v[76:79], a[82:83], a[42:43], v[76:79]// 000000003FD8: D3F3004C 1D325552
	buffer_load_dwordx4 a[76:79], v54, s[84:87], 0 offen offset:1024// 000000003FE0: E05C1400 80954C36
	v_mfma_f32_16x16x32_fp8_fp8 v[76:79], a[84:85], a[44:45], v[76:79]// 000000003FE8: D3F3004C 1D325954
	v_mfma_f32_16x16x32_fp8_fp8 v[76:79], a[86:87], a[46:47], v[76:79]// 000000003FF0: D3F3004C 1D325D56
	ds_read_b128 a[8:11], v2 offset:512                        // 000000003FF8: DBFE0200 08000002
	ds_read_b128 a[12:15], v2 offset:576                       // 000000004000: DBFE0240 0C000002
	v_mfma_f32_16x16x32_fp8_fp8 v[80:83], a[80:81], a[48:49], v[80:83]// 000000004008: D3F30050 1D426150
	s_add_u32 s60, 0x180, s80                                  // 000000004010: 803C50FF 00000180
	s_cmp_lt_u32 s60, s81                                      // 000000004018: BF0A513C
	s_cselect_b32 s57, s57, 0                                  // 00000000401C: 85398039
	v_mfma_f32_16x16x32_fp8_fp8 v[80:83], a[82:83], a[50:51], v[80:83]// 000000004020: D3F30050 1D426552
	s_add_u32 s60, 0x100, s80                                  // 000000004028: 803C50FF 00000100
	s_cmp_lt_u32 s60, s81                                      // 000000004030: BF0A513C
	s_cselect_b32 s58, s58, 0                                  // 000000004034: 853A803A
	v_mfma_f32_16x16x32_fp8_fp8 v[80:83], a[84:85], a[52:53], v[80:83]// 000000004038: D3F30050 1D426954
	s_add_u32 s60, 0x100, s80                                  // 000000004040: 803C50FF 00000100
	s_cmp_lt_u32 s60, s81                                      // 000000004048: BF0A513C
	s_cselect_b32 s83, s83, 0                                  // 00000000404C: 85538053
	v_mfma_f32_16x16x32_fp8_fp8 v[80:83], a[86:87], a[54:55], v[80:83]// 000000004050: D3F30050 1D426D56
	ds_read_b128 a[16:19], v2 offset:1024                      // 000000004058: DBFE0400 10000002
	ds_read_b128 a[20:23], v2 offset:1088                      // 000000004060: DBFE0440 14000002
	s_add_u32 s24, s58, s24                                    // 000000004068: 8018183A
	s_addc_u32 s25, 0, s25                                     // 00000000406C: 82191980
	v_mfma_f32_16x16x32_fp8_fp8 v[84:87], a[80:81], a[56:57], v[84:87]// 000000004070: D3F30054 1D527150
	s_add_u32 s20, s57, s20                                    // 000000004078: 80141439
	s_addc_u32 s21, 0, s21                                     // 00000000407C: 82151580
	v_mfma_f32_16x16x32_fp8_fp8 v[84:87], a[82:83], a[58:59], v[84:87]// 000000004080: D3F30054 1D527552
	s_add_u32 s84, s83, s84                                    // 000000004088: 80545453
	s_addc_u32 s85, 0, s85                                     // 00000000408C: 82555580
	v_mfma_f32_16x16x32_fp8_fp8 v[84:87], a[84:85], a[60:61], v[84:87]// 000000004090: D3F30054 1D527954
	v_mfma_f32_16x16x32_fp8_fp8 v[84:87], a[86:87], a[62:63], v[84:87]// 000000004098: D3F30054 1D527D56
	ds_read_b128 a[24:27], v2 offset:1536                      // 0000000040A0: DBFE0600 18000002
	ds_read_b128 a[28:31], v2 offset:1600                      // 0000000040A8: DBFE0640 1C000002
	s_addk_i32 s80, 0x80                                       // 0000000040B0: B7500080
	s_cmp_lt_i32 s80, s81                                      // 0000000040B4: BF045150
	s_cbranch_scc0 label_05B0                                  // 0000000040B8: BF840001
	s_branch label_0255                                        // 0000000040BC: BF82FCA5

00000000000040c0 <label_05B0>:
	v_mul_f32_dpp v56, v24, v56 row_newbcast:0 row_mask:0xf bank_mask:0xf// 0000000040C0: 0A7070FA FF015018
	v_mul_f32_dpp v57, v24, v57 row_newbcast:1 row_mask:0xf bank_mask:0xf// 0000000040C8: 0A7272FA FF015118
	v_mul_f32_dpp v58, v24, v58 row_newbcast:2 row_mask:0xf bank_mask:0xf// 0000000040D0: 0A7474FA FF015218
	v_mul_f32_dpp v59, v24, v59 row_newbcast:3 row_mask:0xf bank_mask:0xf// 0000000040D8: 0A7676FA FF015318
	v_mul_f32_dpp v60, v24, v60 row_newbcast:0 row_mask:0xf bank_mask:0xf// 0000000040E0: 0A7878FA FF015018
	v_mul_f32_dpp v61, v24, v61 row_newbcast:1 row_mask:0xf bank_mask:0xf// 0000000040E8: 0A7A7AFA FF015118
	v_mul_f32_dpp v62, v24, v62 row_newbcast:2 row_mask:0xf bank_mask:0xf// 0000000040F0: 0A7C7CFA FF015218
	v_mul_f32_dpp v63, v24, v63 row_newbcast:3 row_mask:0xf bank_mask:0xf// 0000000040F8: 0A7E7EFA FF015318
	v_mul_f32_dpp v64, v24, v64 row_newbcast:0 row_mask:0xf bank_mask:0xf// 000000004100: 0A8080FA FF015018
	v_mul_f32_dpp v65, v24, v65 row_newbcast:1 row_mask:0xf bank_mask:0xf// 000000004108: 0A8282FA FF015118
	v_mul_f32_dpp v66, v24, v66 row_newbcast:2 row_mask:0xf bank_mask:0xf// 000000004110: 0A8484FA FF015218
	v_mul_f32_dpp v67, v24, v67 row_newbcast:3 row_mask:0xf bank_mask:0xf// 000000004118: 0A8686FA FF015318
	v_mul_f32_dpp v68, v24, v68 row_newbcast:0 row_mask:0xf bank_mask:0xf// 000000004120: 0A8888FA FF015018
	v_mul_f32_dpp v69, v24, v69 row_newbcast:1 row_mask:0xf bank_mask:0xf// 000000004128: 0A8A8AFA FF015118
	v_mul_f32_dpp v70, v24, v70 row_newbcast:2 row_mask:0xf bank_mask:0xf// 000000004130: 0A8C8CFA FF015218
	v_mul_f32_dpp v71, v24, v71 row_newbcast:3 row_mask:0xf bank_mask:0xf// 000000004138: 0A8E8EFA FF015318
	v_mul_f32_dpp v72, v27, v72 row_newbcast:0 row_mask:0xf bank_mask:0xf// 000000004140: 0A9090FA FF01501B
	v_mul_f32_dpp v73, v27, v73 row_newbcast:1 row_mask:0xf bank_mask:0xf// 000000004148: 0A9292FA FF01511B
	v_mul_f32_dpp v74, v27, v74 row_newbcast:2 row_mask:0xf bank_mask:0xf// 000000004150: 0A9494FA FF01521B
	v_mul_f32_dpp v75, v27, v75 row_newbcast:3 row_mask:0xf bank_mask:0xf// 000000004158: 0A9696FA FF01531B
	v_mul_f32_dpp v76, v27, v76 row_newbcast:0 row_mask:0xf bank_mask:0xf// 000000004160: 0A9898FA FF01501B
	v_mul_f32_dpp v77, v27, v77 row_newbcast:1 row_mask:0xf bank_mask:0xf// 000000004168: 0A9A9AFA FF01511B
	v_mul_f32_dpp v78, v27, v78 row_newbcast:2 row_mask:0xf bank_mask:0xf// 000000004170: 0A9C9CFA FF01521B
	v_mul_f32_dpp v79, v27, v79 row_newbcast:3 row_mask:0xf bank_mask:0xf// 000000004178: 0A9E9EFA FF01531B
	v_mul_f32_dpp v80, v27, v80 row_newbcast:0 row_mask:0xf bank_mask:0xf// 000000004180: 0AA0A0FA FF01501B
	v_mul_f32_dpp v81, v27, v81 row_newbcast:1 row_mask:0xf bank_mask:0xf// 000000004188: 0AA2A2FA FF01511B
	v_mul_f32_dpp v82, v27, v82 row_newbcast:2 row_mask:0xf bank_mask:0xf// 000000004190: 0AA4A4FA FF01521B
	v_mul_f32_dpp v83, v27, v83 row_newbcast:3 row_mask:0xf bank_mask:0xf// 000000004198: 0AA6A6FA FF01531B
	v_mul_f32_dpp v84, v27, v84 row_newbcast:0 row_mask:0xf bank_mask:0xf// 0000000041A0: 0AA8A8FA FF01501B
	v_mul_f32_dpp v85, v27, v85 row_newbcast:1 row_mask:0xf bank_mask:0xf// 0000000041A8: 0AAAAAFA FF01511B
	v_mul_f32_dpp v86, v27, v86 row_newbcast:2 row_mask:0xf bank_mask:0xf// 0000000041B0: 0AACACFA FF01521B
	v_mul_f32_dpp v87, v27, v87 row_newbcast:3 row_mask:0xf bank_mask:0xf// 0000000041B8: 0AAEAEFA FF01531B
	v_mul_f32_e32 v34, v34, v88                                // 0000000041C0: 0A44B122
	v_mov_b32_e32 v4, v34                                      // 0000000041C4: 7E080322
	v_mov_b32_e32 v5, v4                                       // 0000000041C8: 7E0A0304
	v_pk_mul_f32 v[56:57], v[4:5], v[56:57]                    // 0000000041CC: D3B14038 18027104
	v_pk_mul_f32 v[72:73], v[4:5], v[72:73]                    // 0000000041D4: D3B14048 18029104
	v_pk_mul_f32 v[58:59], v[4:5], v[58:59]                    // 0000000041DC: D3B1403A 18027504
	v_pk_mul_f32 v[74:75], v[4:5], v[74:75]                    // 0000000041E4: D3B1404A 18029504
	v_mul_f32_e32 v35, v35, v89                                // 0000000041EC: 0A46B323
	v_mov_b32_e32 v4, v35                                      // 0000000041F0: 7E080323
	v_mov_b32_e32 v5, v4                                       // 0000000041F4: 7E0A0304
	v_pk_mul_f32 v[60:61], v[4:5], v[60:61]                    // 0000000041F8: D3B1403C 18027904
	v_pk_mul_f32 v[76:77], v[4:5], v[76:77]                    // 000000004200: D3B1404C 18029904
	v_pk_mul_f32 v[62:63], v[4:5], v[62:63]                    // 000000004208: D3B1403E 18027D04
	v_pk_mul_f32 v[78:79], v[4:5], v[78:79]                    // 000000004210: D3B1404E 18029D04
	v_mul_f32_e32 v36, v36, v90                                // 000000004218: 0A48B524
	v_mov_b32_e32 v4, v36                                      // 00000000421C: 7E080324
	v_mov_b32_e32 v5, v4                                       // 000000004220: 7E0A0304
	v_pk_mul_f32 v[64:65], v[4:5], v[64:65]                    // 000000004224: D3B14040 18028104
	v_pk_mul_f32 v[80:81], v[4:5], v[80:81]                    // 00000000422C: D3B14050 1802A104
	v_pk_mul_f32 v[66:67], v[4:5], v[66:67]                    // 000000004234: D3B14042 18028504
	v_pk_mul_f32 v[82:83], v[4:5], v[82:83]                    // 00000000423C: D3B14052 1802A504
	v_mul_f32_e32 v37, v37, v91                                // 000000004244: 0A4AB725
	v_mov_b32_e32 v4, v37                                      // 000000004248: 7E080325
	v_mov_b32_e32 v5, v4                                       // 00000000424C: 7E0A0304
	v_pk_mul_f32 v[68:69], v[4:5], v[68:69]                    // 000000004250: D3B14044 18028904
	v_pk_mul_f32 v[84:85], v[4:5], v[84:85]                    // 000000004258: D3B14054 1802A904
	v_pk_mul_f32 v[70:71], v[4:5], v[70:71]                    // 000000004260: D3B14046 18028D04
	v_pk_mul_f32 v[86:87], v[4:5], v[86:87]                    // 000000004268: D3B14056 1802AD04
	s_cmp_eq_u32 s88, 0                                        // 000000004270: BF068058
	s_cbranch_scc0 label_0927                                  // 000000004274: BF840309
	s_cmp_eq_u32 s89, 0                                        // 000000004278: BF068059
	s_cbranch_scc1 label_06C5                                  // 00000000427C: BF8500A5
	v_mov_b32_e32 v8, v1                                       // 000000004280: 7E100301
	v_mov_b32_e32 v9, v1                                       // 000000004284: 7E120301
	s_mov_b32 s60, s6                                          // 000000004288: BEBC0006
	s_mov_b32 s61, s6                                          // 00000000428C: BEBD0006
	v_pk_mul_f32 v[4:5], v[56:57], v[56:57]                    // 000000004290: D3B14004 18027138
	v_pk_mul_f32 v[6:7], v[58:59], v[58:59]                    // 000000004298: D3B14006 1802753A
	v_pk_fma_f32 v[4:5], v[4:5], s[78:79], v[8:9]              // 0000000042A0: D3B04004 1C209D04
	v_pk_fma_f32 v[6:7], v[6:7], s[78:79], v[8:9]              // 0000000042A8: D3B04006 1C209D06
	v_pk_mul_f32 v[4:5], v[4:5], v[56:57]                      // 0000000042B0: D3B14004 18027104
	v_pk_mul_f32 v[6:7], v[6:7], v[58:59]                      // 0000000042B8: D3B14006 18027506
	v_pk_mul_f32 v[4:5], v[4:5], s[60:61]                      // 0000000042C0: D3B14004 18007904
	v_pk_mul_f32 v[6:7], v[6:7], s[60:61]                      // 0000000042C8: D3B14006 18007906
	v_exp_f32_e32 v4, v4                                       // 0000000042D0: 7E084104
	v_exp_f32_e32 v5, v5                                       // 0000000042D4: 7E0A4105
	v_exp_f32_e32 v6, v6                                       // 0000000042D8: 7E0C4106
	v_exp_f32_e32 v7, v7                                       // 0000000042DC: 7E0E4107
	v_add_f32_e64 v4, v4, 1.0                                  // 0000000042E0: D1010004 0001E504
	v_add_f32_e64 v5, v5, 1.0                                  // 0000000042E8: D1010005 0001E505
	v_add_f32_e64 v6, v6, 1.0                                  // 0000000042F0: D1010006 0001E506
	v_add_f32_e64 v7, v7, 1.0                                  // 0000000042F8: D1010007 0001E507
	v_rcp_f32_e32 v4, v4                                       // 000000004300: 7E084504
	v_rcp_f32_e32 v5, v5                                       // 000000004304: 7E0A4505
	v_rcp_f32_e32 v6, v6                                       // 000000004308: 7E0C4506
	v_rcp_f32_e32 v7, v7                                       // 00000000430C: 7E0E4507
	v_mul_f32_e32 v56, v56, v4                                 // 000000004310: 0A700938
	v_mul_f32_e32 v57, v57, v5                                 // 000000004314: 0A720B39
	v_mul_f32_e32 v58, v58, v6                                 // 000000004318: 0A740D3A
	v_mul_f32_e32 v59, v59, v7                                 // 00000000431C: 0A760F3B
	v_mul_f32_e32 v56, v56, v72                                // 000000004320: 0A709138
	v_mul_f32_e32 v57, v57, v73                                // 000000004324: 0A729339
	v_mul_f32_e32 v58, v58, v74                                // 000000004328: 0A74953A
	v_mul_f32_e32 v59, v59, v75                                // 00000000432C: 0A76973B
	v_pk_mul_f32 v[4:5], v[60:61], v[60:61]                    // 000000004330: D3B14004 1802793C
	v_pk_mul_f32 v[6:7], v[62:63], v[62:63]                    // 000000004338: D3B14006 18027D3E
	v_pk_fma_f32 v[4:5], v[4:5], s[78:79], v[8:9]              // 000000004340: D3B04004 1C209D04
	v_pk_fma_f32 v[6:7], v[6:7], s[78:79], v[8:9]              // 000000004348: D3B04006 1C209D06
	v_pk_mul_f32 v[4:5], v[4:5], v[60:61]                      // 000000004350: D3B14004 18027904
	v_pk_mul_f32 v[6:7], v[6:7], v[62:63]                      // 000000004358: D3B14006 18027D06
	v_pk_mul_f32 v[4:5], v[4:5], s[60:61]                      // 000000004360: D3B14004 18007904
	v_pk_mul_f32 v[6:7], v[6:7], s[60:61]                      // 000000004368: D3B14006 18007906
	v_exp_f32_e32 v4, v4                                       // 000000004370: 7E084104
	v_exp_f32_e32 v5, v5                                       // 000000004374: 7E0A4105
	v_exp_f32_e32 v6, v6                                       // 000000004378: 7E0C4106
	v_exp_f32_e32 v7, v7                                       // 00000000437C: 7E0E4107
	v_add_f32_e64 v4, v4, 1.0                                  // 000000004380: D1010004 0001E504
	v_add_f32_e64 v5, v5, 1.0                                  // 000000004388: D1010005 0001E505
	v_add_f32_e64 v6, v6, 1.0                                  // 000000004390: D1010006 0001E506
	v_add_f32_e64 v7, v7, 1.0                                  // 000000004398: D1010007 0001E507
	v_rcp_f32_e32 v4, v4                                       // 0000000043A0: 7E084504
	v_rcp_f32_e32 v5, v5                                       // 0000000043A4: 7E0A4505
	v_rcp_f32_e32 v6, v6                                       // 0000000043A8: 7E0C4506
	v_rcp_f32_e32 v7, v7                                       // 0000000043AC: 7E0E4507
	v_mul_f32_e32 v60, v60, v4                                 // 0000000043B0: 0A78093C
	v_mul_f32_e32 v61, v61, v5                                 // 0000000043B4: 0A7A0B3D
	v_mul_f32_e32 v62, v62, v6                                 // 0000000043B8: 0A7C0D3E
	v_mul_f32_e32 v63, v63, v7                                 // 0000000043BC: 0A7E0F3F
	v_mul_f32_e32 v60, v60, v76                                // 0000000043C0: 0A78993C
	v_mul_f32_e32 v61, v61, v77                                // 0000000043C4: 0A7A9B3D
	v_mul_f32_e32 v62, v62, v78                                // 0000000043C8: 0A7C9D3E
	v_mul_f32_e32 v63, v63, v79                                // 0000000043CC: 0A7E9F3F
	v_pk_mul_f32 v[4:5], v[64:65], v[64:65]                    // 0000000043D0: D3B14004 18028140
	v_pk_mul_f32 v[6:7], v[66:67], v[66:67]                    // 0000000043D8: D3B14006 18028542
	v_pk_fma_f32 v[4:5], v[4:5], s[78:79], v[8:9]              // 0000000043E0: D3B04004 1C209D04
	v_pk_fma_f32 v[6:7], v[6:7], s[78:79], v[8:9]              // 0000000043E8: D3B04006 1C209D06
	v_pk_mul_f32 v[4:5], v[4:5], v[64:65]                      // 0000000043F0: D3B14004 18028104
	v_pk_mul_f32 v[6:7], v[6:7], v[66:67]                      // 0000000043F8: D3B14006 18028506
	v_pk_mul_f32 v[4:5], v[4:5], s[60:61]                      // 000000004400: D3B14004 18007904
	v_pk_mul_f32 v[6:7], v[6:7], s[60:61]                      // 000000004408: D3B14006 18007906
	v_exp_f32_e32 v4, v4                                       // 000000004410: 7E084104
	v_exp_f32_e32 v5, v5                                       // 000000004414: 7E0A4105
	v_exp_f32_e32 v6, v6                                       // 000000004418: 7E0C4106
	v_exp_f32_e32 v7, v7                                       // 00000000441C: 7E0E4107
	v_add_f32_e64 v4, v4, 1.0                                  // 000000004420: D1010004 0001E504
	v_add_f32_e64 v5, v5, 1.0                                  // 000000004428: D1010005 0001E505
	v_add_f32_e64 v6, v6, 1.0                                  // 000000004430: D1010006 0001E506
	v_add_f32_e64 v7, v7, 1.0                                  // 000000004438: D1010007 0001E507
	v_rcp_f32_e32 v4, v4                                       // 000000004440: 7E084504
	v_rcp_f32_e32 v5, v5                                       // 000000004444: 7E0A4505
	v_rcp_f32_e32 v6, v6                                       // 000000004448: 7E0C4506
	v_rcp_f32_e32 v7, v7                                       // 00000000444C: 7E0E4507
	v_mul_f32_e32 v64, v64, v4                                 // 000000004450: 0A800940
	v_mul_f32_e32 v65, v65, v5                                 // 000000004454: 0A820B41
	v_mul_f32_e32 v66, v66, v6                                 // 000000004458: 0A840D42
	v_mul_f32_e32 v67, v67, v7                                 // 00000000445C: 0A860F43
	v_mul_f32_e32 v64, v64, v80                                // 000000004460: 0A80A140
	v_mul_f32_e32 v65, v65, v81                                // 000000004464: 0A82A341
	v_mul_f32_e32 v66, v66, v82                                // 000000004468: 0A84A542
	v_mul_f32_e32 v67, v67, v83                                // 00000000446C: 0A86A743
	v_pk_mul_f32 v[4:5], v[68:69], v[68:69]                    // 000000004470: D3B14004 18028944
	v_pk_mul_f32 v[6:7], v[70:71], v[70:71]                    // 000000004478: D3B14006 18028D46
	v_pk_fma_f32 v[4:5], v[4:5], s[78:79], v[8:9]              // 000000004480: D3B04004 1C209D04
	v_pk_fma_f32 v[6:7], v[6:7], s[78:79], v[8:9]              // 000000004488: D3B04006 1C209D06
	v_pk_mul_f32 v[4:5], v[4:5], v[68:69]                      // 000000004490: D3B14004 18028904
	v_pk_mul_f32 v[6:7], v[6:7], v[70:71]                      // 000000004498: D3B14006 18028D06
	v_pk_mul_f32 v[4:5], v[4:5], s[60:61]                      // 0000000044A0: D3B14004 18007904
	v_pk_mul_f32 v[6:7], v[6:7], s[60:61]                      // 0000000044A8: D3B14006 18007906
	v_exp_f32_e32 v4, v4                                       // 0000000044B0: 7E084104
	v_exp_f32_e32 v5, v5                                       // 0000000044B4: 7E0A4105
	v_exp_f32_e32 v6, v6                                       // 0000000044B8: 7E0C4106
	v_exp_f32_e32 v7, v7                                       // 0000000044BC: 7E0E4107
	v_add_f32_e64 v4, v4, 1.0                                  // 0000000044C0: D1010004 0001E504
	v_add_f32_e64 v5, v5, 1.0                                  // 0000000044C8: D1010005 0001E505
	v_add_f32_e64 v6, v6, 1.0                                  // 0000000044D0: D1010006 0001E506
	v_add_f32_e64 v7, v7, 1.0                                  // 0000000044D8: D1010007 0001E507
	v_rcp_f32_e32 v4, v4                                       // 0000000044E0: 7E084504
	v_rcp_f32_e32 v5, v5                                       // 0000000044E4: 7E0A4505
	v_rcp_f32_e32 v6, v6                                       // 0000000044E8: 7E0C4506
	v_rcp_f32_e32 v7, v7                                       // 0000000044EC: 7E0E4507
	v_mul_f32_e32 v68, v68, v4                                 // 0000000044F0: 0A880944
	v_mul_f32_e32 v69, v69, v5                                 // 0000000044F4: 0A8A0B45
	v_mul_f32_e32 v70, v70, v6                                 // 0000000044F8: 0A8C0D46
	v_mul_f32_e32 v71, v71, v7                                 // 0000000044FC: 0A8E0F47
	v_mul_f32_e32 v68, v68, v84                                // 000000004500: 0A88A944
	v_mul_f32_e32 v69, v69, v85                                // 000000004504: 0A8AAB45
	v_mul_f32_e32 v70, v70, v86                                // 000000004508: 0A8CAD46
	v_mul_f32_e32 v71, v71, v87                                // 00000000450C: 0A8EAF47
	s_branch label_0745                                        // 000000004510: BF820080

0000000000004514 <label_06C5>:
	v_mul_f32_e64 v4, -v56, s6                                 // 000000004514: D1050004 20000D38
	v_mul_f32_e64 v5, -v57, s6                                 // 00000000451C: D1050005 20000D39
	v_mul_f32_e64 v6, -v58, s6                                 // 000000004524: D1050006 20000D3A
	v_mul_f32_e64 v7, -v59, s6                                 // 00000000452C: D1050007 20000D3B
	v_exp_f32_e32 v4, v4                                       // 000000004534: 7E084104
	v_exp_f32_e32 v5, v5                                       // 000000004538: 7E0A4105
	v_exp_f32_e32 v6, v6                                       // 00000000453C: 7E0C4106
	v_exp_f32_e32 v7, v7                                       // 000000004540: 7E0E4107
	v_add_f32_e64 v4, v4, 1.0                                  // 000000004544: D1010004 0001E504
	v_add_f32_e64 v5, v5, 1.0                                  // 00000000454C: D1010005 0001E505
	v_add_f32_e64 v6, v6, 1.0                                  // 000000004554: D1010006 0001E506
	v_add_f32_e64 v7, v7, 1.0                                  // 00000000455C: D1010007 0001E507
	v_rcp_f32_e32 v4, v4                                       // 000000004564: 7E084504
	v_rcp_f32_e32 v5, v5                                       // 000000004568: 7E0A4505
	v_rcp_f32_e32 v6, v6                                       // 00000000456C: 7E0C4506
	v_rcp_f32_e32 v7, v7                                       // 000000004570: 7E0E4507
	v_mul_f32_e32 v56, v56, v4                                 // 000000004574: 0A700938
	v_mul_f32_e32 v57, v57, v5                                 // 000000004578: 0A720B39
	v_mul_f32_e32 v58, v58, v6                                 // 00000000457C: 0A740D3A
	v_mul_f32_e32 v59, v59, v7                                 // 000000004580: 0A760F3B
	v_mul_f32_e32 v56, v56, v72                                // 000000004584: 0A709138
	v_mul_f32_e32 v57, v57, v73                                // 000000004588: 0A729339
	v_mul_f32_e32 v58, v58, v74                                // 00000000458C: 0A74953A
	v_mul_f32_e32 v59, v59, v75                                // 000000004590: 0A76973B
	v_mul_f32_e64 v4, -v60, s6                                 // 000000004594: D1050004 20000D3C
	v_mul_f32_e64 v5, -v61, s6                                 // 00000000459C: D1050005 20000D3D
	v_mul_f32_e64 v6, -v62, s6                                 // 0000000045A4: D1050006 20000D3E
	v_mul_f32_e64 v7, -v63, s6                                 // 0000000045AC: D1050007 20000D3F
	v_exp_f32_e32 v4, v4                                       // 0000000045B4: 7E084104
	v_exp_f32_e32 v5, v5                                       // 0000000045B8: 7E0A4105
	v_exp_f32_e32 v6, v6                                       // 0000000045BC: 7E0C4106
	v_exp_f32_e32 v7, v7                                       // 0000000045C0: 7E0E4107
	v_add_f32_e64 v4, v4, 1.0                                  // 0000000045C4: D1010004 0001E504
	v_add_f32_e64 v5, v5, 1.0                                  // 0000000045CC: D1010005 0001E505
	v_add_f32_e64 v6, v6, 1.0                                  // 0000000045D4: D1010006 0001E506
	v_add_f32_e64 v7, v7, 1.0                                  // 0000000045DC: D1010007 0001E507
	v_rcp_f32_e32 v4, v4                                       // 0000000045E4: 7E084504
	v_rcp_f32_e32 v5, v5                                       // 0000000045E8: 7E0A4505
	v_rcp_f32_e32 v6, v6                                       // 0000000045EC: 7E0C4506
	v_rcp_f32_e32 v7, v7                                       // 0000000045F0: 7E0E4507
	v_mul_f32_e32 v60, v60, v4                                 // 0000000045F4: 0A78093C
	v_mul_f32_e32 v61, v61, v5                                 // 0000000045F8: 0A7A0B3D
	v_mul_f32_e32 v62, v62, v6                                 // 0000000045FC: 0A7C0D3E
	v_mul_f32_e32 v63, v63, v7                                 // 000000004600: 0A7E0F3F
	v_mul_f32_e32 v60, v60, v76                                // 000000004604: 0A78993C
	v_mul_f32_e32 v61, v61, v77                                // 000000004608: 0A7A9B3D
	v_mul_f32_e32 v62, v62, v78                                // 00000000460C: 0A7C9D3E
	v_mul_f32_e32 v63, v63, v79                                // 000000004610: 0A7E9F3F
	v_mul_f32_e64 v4, -v64, s6                                 // 000000004614: D1050004 20000D40
	v_mul_f32_e64 v5, -v65, s6                                 // 00000000461C: D1050005 20000D41
	v_mul_f32_e64 v6, -v66, s6                                 // 000000004624: D1050006 20000D42
	v_mul_f32_e64 v7, -v67, s6                                 // 00000000462C: D1050007 20000D43
	v_exp_f32_e32 v4, v4                                       // 000000004634: 7E084104
	v_exp_f32_e32 v5, v5                                       // 000000004638: 7E0A4105
	v_exp_f32_e32 v6, v6                                       // 00000000463C: 7E0C4106
	v_exp_f32_e32 v7, v7                                       // 000000004640: 7E0E4107
	v_add_f32_e64 v4, v4, 1.0                                  // 000000004644: D1010004 0001E504
	v_add_f32_e64 v5, v5, 1.0                                  // 00000000464C: D1010005 0001E505
	v_add_f32_e64 v6, v6, 1.0                                  // 000000004654: D1010006 0001E506
	v_add_f32_e64 v7, v7, 1.0                                  // 00000000465C: D1010007 0001E507
	v_rcp_f32_e32 v4, v4                                       // 000000004664: 7E084504
	v_rcp_f32_e32 v5, v5                                       // 000000004668: 7E0A4505
	v_rcp_f32_e32 v6, v6                                       // 00000000466C: 7E0C4506
	v_rcp_f32_e32 v7, v7                                       // 000000004670: 7E0E4507
	v_mul_f32_e32 v64, v64, v4                                 // 000000004674: 0A800940
	v_mul_f32_e32 v65, v65, v5                                 // 000000004678: 0A820B41
	v_mul_f32_e32 v66, v66, v6                                 // 00000000467C: 0A840D42
	v_mul_f32_e32 v67, v67, v7                                 // 000000004680: 0A860F43
	v_mul_f32_e32 v64, v64, v80                                // 000000004684: 0A80A140
	v_mul_f32_e32 v65, v65, v81                                // 000000004688: 0A82A341
	v_mul_f32_e32 v66, v66, v82                                // 00000000468C: 0A84A542
	v_mul_f32_e32 v67, v67, v83                                // 000000004690: 0A86A743
	v_mul_f32_e64 v4, -v68, s6                                 // 000000004694: D1050004 20000D44
	v_mul_f32_e64 v5, -v69, s6                                 // 00000000469C: D1050005 20000D45
	v_mul_f32_e64 v6, -v70, s6                                 // 0000000046A4: D1050006 20000D46
	v_mul_f32_e64 v7, -v71, s6                                 // 0000000046AC: D1050007 20000D47
	v_exp_f32_e32 v4, v4                                       // 0000000046B4: 7E084104
	v_exp_f32_e32 v5, v5                                       // 0000000046B8: 7E0A4105
	v_exp_f32_e32 v6, v6                                       // 0000000046BC: 7E0C4106
	v_exp_f32_e32 v7, v7                                       // 0000000046C0: 7E0E4107
	v_add_f32_e64 v4, v4, 1.0                                  // 0000000046C4: D1010004 0001E504
	v_add_f32_e64 v5, v5, 1.0                                  // 0000000046CC: D1010005 0001E505
	v_add_f32_e64 v6, v6, 1.0                                  // 0000000046D4: D1010006 0001E506
	v_add_f32_e64 v7, v7, 1.0                                  // 0000000046DC: D1010007 0001E507
	v_rcp_f32_e32 v4, v4                                       // 0000000046E4: 7E084504
	v_rcp_f32_e32 v5, v5                                       // 0000000046E8: 7E0A4505
	v_rcp_f32_e32 v6, v6                                       // 0000000046EC: 7E0C4506
	v_rcp_f32_e32 v7, v7                                       // 0000000046F0: 7E0E4507
	v_mul_f32_e32 v68, v68, v4                                 // 0000000046F4: 0A880944
	v_mul_f32_e32 v69, v69, v5                                 // 0000000046F8: 0A8A0B45
	v_mul_f32_e32 v70, v70, v6                                 // 0000000046FC: 0A8C0D46
	v_mul_f32_e32 v71, v71, v7                                 // 000000004700: 0A8E0F47
	v_mul_f32_e32 v68, v68, v84                                // 000000004704: 0A88A944
	v_mul_f32_e32 v69, v69, v85                                // 000000004708: 0A8AAB45
	v_mul_f32_e32 v70, v70, v86                                // 00000000470C: 0A8CAD46
	v_mul_f32_e32 v71, v71, v87                                // 000000004710: 0A8EAF47

0000000000004714 <label_0745>:
	v_cmp_u_f32_e64 s[46:47], v56, v56                         // 000000004714: D048002E 00027138
	v_add3_u32 v16, v56, v19, 1                                // 00000000471C: D1FF0010 02062738
	v_cndmask_b32_e64 v4, v16, v18, s[46:47]                   // 000000004724: D1000004 00BA2510
	v_cmp_u_f32_e64 s[46:47], v57, v57                         // 00000000472C: D048002E 00027339
	v_add3_u32 v16, v57, v19, 1                                // 000000004734: D1FF0010 02062739
	v_cndmask_b32_e64 v5, v16, v18, s[46:47]                   // 00000000473C: D1000005 00BA2510
	v_perm_b32 v56, v5, v4, s52                                // 000000004744: D1ED0038 00D20905
	v_cmp_u_f32_e64 s[46:47], v58, v58                         // 00000000474C: D048002E 0002753A
	v_add3_u32 v16, v58, v19, 1                                // 000000004754: D1FF0010 0206273A
	v_cndmask_b32_e64 v4, v16, v18, s[46:47]                   // 00000000475C: D1000004 00BA2510
	v_cmp_u_f32_e64 s[46:47], v59, v59                         // 000000004764: D048002E 0002773B
	v_add3_u32 v16, v59, v19, 1                                // 00000000476C: D1FF0010 0206273B
	v_cndmask_b32_e64 v5, v16, v18, s[46:47]                   // 000000004774: D1000005 00BA2510
	v_perm_b32 v57, v5, v4, s52                                // 00000000477C: D1ED0039 00D20905
	v_cmp_u_f32_e64 s[46:47], v60, v60                         // 000000004784: D048002E 0002793C
	v_add3_u32 v16, v60, v19, 1                                // 00000000478C: D1FF0010 0206273C
	v_cndmask_b32_e64 v4, v16, v18, s[46:47]                   // 000000004794: D1000004 00BA2510
	v_cmp_u_f32_e64 s[46:47], v61, v61                         // 00000000479C: D048002E 00027B3D
	v_add3_u32 v16, v61, v19, 1                                // 0000000047A4: D1FF0010 0206273D
	v_cndmask_b32_e64 v5, v16, v18, s[46:47]                   // 0000000047AC: D1000005 00BA2510
	v_perm_b32 v58, v5, v4, s52                                // 0000000047B4: D1ED003A 00D20905
	v_cmp_u_f32_e64 s[46:47], v62, v62                         // 0000000047BC: D048002E 00027D3E
	v_add3_u32 v16, v62, v19, 1                                // 0000000047C4: D1FF0010 0206273E
	v_cndmask_b32_e64 v4, v16, v18, s[46:47]                   // 0000000047CC: D1000004 00BA2510
	v_cmp_u_f32_e64 s[46:47], v63, v63                         // 0000000047D4: D048002E 00027F3F
	v_add3_u32 v16, v63, v19, 1                                // 0000000047DC: D1FF0010 0206273F
	v_cndmask_b32_e64 v5, v16, v18, s[46:47]                   // 0000000047E4: D1000005 00BA2510
	v_perm_b32 v59, v5, v4, s52                                // 0000000047EC: D1ED003B 00D20905
	v_cmp_u_f32_e64 s[46:47], v64, v64                         // 0000000047F4: D048002E 00028140
	v_add3_u32 v16, v64, v19, 1                                // 0000000047FC: D1FF0010 02062740
	v_cndmask_b32_e64 v4, v16, v18, s[46:47]                   // 000000004804: D1000004 00BA2510
	v_cmp_u_f32_e64 s[46:47], v65, v65                         // 00000000480C: D048002E 00028341
	v_add3_u32 v16, v65, v19, 1                                // 000000004814: D1FF0010 02062741
	v_cndmask_b32_e64 v5, v16, v18, s[46:47]                   // 00000000481C: D1000005 00BA2510
	v_perm_b32 v60, v5, v4, s52                                // 000000004824: D1ED003C 00D20905
	v_cmp_u_f32_e64 s[46:47], v66, v66                         // 00000000482C: D048002E 00028542
	v_add3_u32 v16, v66, v19, 1                                // 000000004834: D1FF0010 02062742
	v_cndmask_b32_e64 v4, v16, v18, s[46:47]                   // 00000000483C: D1000004 00BA2510
	v_cmp_u_f32_e64 s[46:47], v67, v67                         // 000000004844: D048002E 00028743
	v_add3_u32 v16, v67, v19, 1                                // 00000000484C: D1FF0010 02062743
	v_cndmask_b32_e64 v5, v16, v18, s[46:47]                   // 000000004854: D1000005 00BA2510
	v_perm_b32 v61, v5, v4, s52                                // 00000000485C: D1ED003D 00D20905
	v_cmp_u_f32_e64 s[46:47], v68, v68                         // 000000004864: D048002E 00028944
	v_add3_u32 v16, v68, v19, 1                                // 00000000486C: D1FF0010 02062744
	v_cndmask_b32_e64 v4, v16, v18, s[46:47]                   // 000000004874: D1000004 00BA2510
	v_cmp_u_f32_e64 s[46:47], v69, v69                         // 00000000487C: D048002E 00028B45
	v_add3_u32 v16, v69, v19, 1                                // 000000004884: D1FF0010 02062745
	v_cndmask_b32_e64 v5, v16, v18, s[46:47]                   // 00000000488C: D1000005 00BA2510
	v_perm_b32 v62, v5, v4, s52                                // 000000004894: D1ED003E 00D20905
	v_cmp_u_f32_e64 s[46:47], v70, v70                         // 00000000489C: D048002E 00028D46
	v_add3_u32 v16, v70, v19, 1                                // 0000000048A4: D1FF0010 02062746
	v_cndmask_b32_e64 v4, v16, v18, s[46:47]                   // 0000000048AC: D1000004 00BA2510
	v_cmp_u_f32_e64 s[46:47], v71, v71                         // 0000000048B4: D048002E 00028F47
	v_add3_u32 v16, v71, v19, 1                                // 0000000048BC: D1FF0010 02062747
	v_cndmask_b32_e64 v5, v16, v18, s[46:47]                   // 0000000048C4: D1000005 00BA2510
	v_perm_b32 v63, v5, v4, s52                                // 0000000048CC: D1ED003F 00D20905
	ds_write_b64 v20, v[56:57]                                 // 0000000048D4: D89A0000 00003814
	ds_write_b64 v20, v[58:59] offset:2176                     // 0000000048DC: D89A0880 00003A14
	ds_write_b64 v20, v[60:61] offset:4352                     // 0000000048E4: D89A1100 00003C14
	ds_write_b64 v20, v[62:63] offset:6528                     // 0000000048EC: D89A1980 00003E14
	v_lshrrev_b32_e32 v4, 5, v0                                // 0000000048F4: 20080085
	v_xor_b32_e32 v5, 1, v4                                    // 0000000048F8: 2A0A0881
	s_mul_i32 s60, s65, 2                                      // 0000000048FC: 923C8241
	s_cmp_eq_u32 s88, 0                                        // 000000004900: BF068058
	s_cselect_b32 s61, 1, 4                                    // 000000004904: 853D8481
	s_mul_i32 s60, s61, s60                                    // 000000004908: 923C3C3D
	v_readlane_b32 s82, v3, 0                                  // 00000000490C: D2890052 00010103
	s_lshr_b32 s61, s82, 24                                    // 000000004914: 8F3D9852
	s_and_b32 s82, s82, 0xffffff                               // 000000004918: 8652FF52 00FFFFFF
	s_mul_i32 s82, s82, s71                                    // 000000004920: 92524752
	s_mul_i32 s61, s60, s61                                    // 000000004924: 923D3D3C
	s_add_u32 s82, s82, s61                                    // 000000004928: 80523D52
	v_mul_lo_u32 v6, v5, s82                                   // 00000000492C: D2850006 0000A505
	v_readlane_b32 s82, v3, 1                                  // 000000004934: D2890052 00010303
	s_lshr_b32 s61, s82, 24                                    // 00000000493C: 8F3D9852
	s_and_b32 s82, s82, 0xffffff                               // 000000004940: 8652FF52 00FFFFFF
	s_mul_i32 s82, s82, s71                                    // 000000004948: 92524752
	s_mul_i32 s61, s60, s61                                    // 00000000494C: 923D3D3C
	s_add_u32 s82, s82, s61                                    // 000000004950: 80523D52
	v_mul_lo_u32 v7, v4, s82                                   // 000000004954: D2850007 0000A504
	v_add_u32_e32 v46, v6, v7                                  // 00000000495C: 685C0F06
	v_readlane_b32 s82, v3, 2                                  // 000000004960: D2890052 00010503
	s_lshr_b32 s61, s82, 24                                    // 000000004968: 8F3D9852
	s_and_b32 s82, s82, 0xffffff                               // 00000000496C: 8652FF52 00FFFFFF
	s_mul_i32 s82, s82, s71                                    // 000000004974: 92524752
	s_mul_i32 s61, s60, s61                                    // 000000004978: 923D3D3C
	s_add_u32 s82, s82, s61                                    // 00000000497C: 80523D52
	v_mul_lo_u32 v6, v5, s82                                   // 000000004980: D2850006 0000A505
	v_readlane_b32 s82, v3, 3                                  // 000000004988: D2890052 00010703
	s_lshr_b32 s61, s82, 24                                    // 000000004990: 8F3D9852
	s_and_b32 s82, s82, 0xffffff                               // 000000004994: 8652FF52 00FFFFFF
	s_mul_i32 s82, s82, s71                                    // 00000000499C: 92524752
	s_mul_i32 s61, s60, s61                                    // 0000000049A0: 923D3D3C
	s_add_u32 s82, s82, s61                                    // 0000000049A4: 80523D52
	v_mul_lo_u32 v7, v4, s82                                   // 0000000049A8: D2850007 0000A504
	v_add_u32_e32 v47, v6, v7                                  // 0000000049B0: 685E0F06
	v_readlane_b32 s82, v3, 4                                  // 0000000049B4: D2890052 00010903
	s_lshr_b32 s61, s82, 24                                    // 0000000049BC: 8F3D9852
	s_and_b32 s82, s82, 0xffffff                               // 0000000049C0: 8652FF52 00FFFFFF
	s_mul_i32 s82, s82, s71                                    // 0000000049C8: 92524752
	s_mul_i32 s61, s60, s61                                    // 0000000049CC: 923D3D3C
	s_add_u32 s82, s82, s61                                    // 0000000049D0: 80523D52
	v_mul_lo_u32 v6, v5, s82                                   // 0000000049D4: D2850006 0000A505
	v_readlane_b32 s82, v3, 5                                  // 0000000049DC: D2890052 00010B03
	s_lshr_b32 s61, s82, 24                                    // 0000000049E4: 8F3D9852
	s_and_b32 s82, s82, 0xffffff                               // 0000000049E8: 8652FF52 00FFFFFF
	s_mul_i32 s82, s82, s71                                    // 0000000049F0: 92524752
	s_mul_i32 s61, s60, s61                                    // 0000000049F4: 923D3D3C
	s_add_u32 s82, s82, s61                                    // 0000000049F8: 80523D52
	v_mul_lo_u32 v7, v4, s82                                   // 0000000049FC: D2850007 0000A504
	v_add_u32_e32 v48, v6, v7                                  // 000000004A04: 68600F06
	v_readlane_b32 s82, v3, 6                                  // 000000004A08: D2890052 00010D03
	s_lshr_b32 s61, s82, 24                                    // 000000004A10: 8F3D9852
	s_and_b32 s82, s82, 0xffffff                               // 000000004A14: 8652FF52 00FFFFFF
	s_mul_i32 s82, s82, s71                                    // 000000004A1C: 92524752
	s_mul_i32 s61, s60, s61                                    // 000000004A20: 923D3D3C
	s_add_u32 s82, s82, s61                                    // 000000004A24: 80523D52
	v_mul_lo_u32 v6, v5, s82                                   // 000000004A28: D2850006 0000A505
	v_readlane_b32 s82, v3, 7                                  // 000000004A30: D2890052 00010F03
	s_lshr_b32 s61, s82, 24                                    // 000000004A38: 8F3D9852
	s_and_b32 s82, s82, 0xffffff                               // 000000004A3C: 8652FF52 00FFFFFF
	s_mul_i32 s82, s82, s71                                    // 000000004A44: 92524752
	s_mul_i32 s61, s60, s61                                    // 000000004A48: 923D3D3C
	s_add_u32 s82, s82, s61                                    // 000000004A4C: 80523D52
	v_mul_lo_u32 v7, v4, s82                                   // 000000004A50: D2850007 0000A504
	v_add_u32_e32 v49, v6, v7                                  // 000000004A58: 68620F06
	v_readlane_b32 s82, v3, 8                                  // 000000004A5C: D2890052 00011103
	s_lshr_b32 s61, s82, 24                                    // 000000004A64: 8F3D9852
	s_and_b32 s82, s82, 0xffffff                               // 000000004A68: 8652FF52 00FFFFFF
	s_mul_i32 s82, s82, s71                                    // 000000004A70: 92524752
	s_mul_i32 s61, s60, s61                                    // 000000004A74: 923D3D3C
	s_add_u32 s82, s82, s61                                    // 000000004A78: 80523D52
	v_mul_lo_u32 v6, v5, s82                                   // 000000004A7C: D2850006 0000A505
	v_readlane_b32 s82, v3, 9                                  // 000000004A84: D2890052 00011303
	s_lshr_b32 s61, s82, 24                                    // 000000004A8C: 8F3D9852
	s_and_b32 s82, s82, 0xffffff                               // 000000004A90: 8652FF52 00FFFFFF
	s_mul_i32 s82, s82, s71                                    // 000000004A98: 92524752
	s_mul_i32 s61, s60, s61                                    // 000000004A9C: 923D3D3C
	s_add_u32 s82, s82, s61                                    // 000000004AA0: 80523D52
	v_mul_lo_u32 v7, v4, s82                                   // 000000004AA4: D2850007 0000A504
	v_add_u32_e32 v50, v6, v7                                  // 000000004AAC: 68640F06
	v_readlane_b32 s82, v3, 10                                 // 000000004AB0: D2890052 00011503
	s_lshr_b32 s61, s82, 24                                    // 000000004AB8: 8F3D9852
	s_and_b32 s82, s82, 0xffffff                               // 000000004ABC: 8652FF52 00FFFFFF
	s_mul_i32 s82, s82, s71                                    // 000000004AC4: 92524752
	s_mul_i32 s61, s60, s61                                    // 000000004AC8: 923D3D3C
	s_add_u32 s82, s82, s61                                    // 000000004ACC: 80523D52
	v_mul_lo_u32 v6, v5, s82                                   // 000000004AD0: D2850006 0000A505
	v_readlane_b32 s82, v3, 11                                 // 000000004AD8: D2890052 00011703
	s_lshr_b32 s61, s82, 24                                    // 000000004AE0: 8F3D9852
	s_and_b32 s82, s82, 0xffffff                               // 000000004AE4: 8652FF52 00FFFFFF
	s_mul_i32 s82, s82, s71                                    // 000000004AEC: 92524752
	s_mul_i32 s61, s60, s61                                    // 000000004AF0: 923D3D3C
	s_add_u32 s82, s82, s61                                    // 000000004AF4: 80523D52
	v_mul_lo_u32 v7, v4, s82                                   // 000000004AF8: D2850007 0000A504
	v_add_u32_e32 v51, v6, v7                                  // 000000004B00: 68660F06
	v_readlane_b32 s82, v3, 12                                 // 000000004B04: D2890052 00011903
	s_lshr_b32 s61, s82, 24                                    // 000000004B0C: 8F3D9852
	s_and_b32 s82, s82, 0xffffff                               // 000000004B10: 8652FF52 00FFFFFF
	s_mul_i32 s82, s82, s71                                    // 000000004B18: 92524752
	s_mul_i32 s61, s60, s61                                    // 000000004B1C: 923D3D3C
	s_add_u32 s82, s82, s61                                    // 000000004B20: 80523D52
	v_mul_lo_u32 v6, v5, s82                                   // 000000004B24: D2850006 0000A505
	v_readlane_b32 s82, v3, 13                                 // 000000004B2C: D2890052 00011B03
	s_lshr_b32 s61, s82, 24                                    // 000000004B34: 8F3D9852
	s_and_b32 s82, s82, 0xffffff                               // 000000004B38: 8652FF52 00FFFFFF
	s_mul_i32 s82, s82, s71                                    // 000000004B40: 92524752
	s_mul_i32 s61, s60, s61                                    // 000000004B44: 923D3D3C
	s_add_u32 s82, s82, s61                                    // 000000004B48: 80523D52
	v_mul_lo_u32 v7, v4, s82                                   // 000000004B4C: D2850007 0000A504
	v_add_u32_e32 v52, v6, v7                                  // 000000004B54: 68680F06
	v_readlane_b32 s82, v3, 14                                 // 000000004B58: D2890052 00011D03
	s_lshr_b32 s61, s82, 24                                    // 000000004B60: 8F3D9852
	s_and_b32 s82, s82, 0xffffff                               // 000000004B64: 8652FF52 00FFFFFF
	s_mul_i32 s82, s82, s71                                    // 000000004B6C: 92524752
	s_mul_i32 s61, s60, s61                                    // 000000004B70: 923D3D3C
	s_add_u32 s82, s82, s61                                    // 000000004B74: 80523D52
	v_mul_lo_u32 v6, v5, s82                                   // 000000004B78: D2850006 0000A505
	v_readlane_b32 s82, v3, 15                                 // 000000004B80: D2890052 00011F03
	s_lshr_b32 s61, s82, 24                                    // 000000004B88: 8F3D9852
	s_and_b32 s82, s82, 0xffffff                               // 000000004B8C: 8652FF52 00FFFFFF
	s_mul_i32 s82, s82, s71                                    // 000000004B94: 92524752
	s_mul_i32 s61, s60, s61                                    // 000000004B98: 923D3D3C
	s_add_u32 s82, s82, s61                                    // 000000004B9C: 80523D52
	v_mul_lo_u32 v7, v4, s82                                   // 000000004BA0: D2850007 0000A504
	v_add_u32_e32 v53, v6, v7                                  // 000000004BA8: 686A0F06
	v_and_b32_e32 v4, 31, v0                                   // 000000004BAC: 2608009F
	v_lshrrev_b32_e32 v4, 1, v4                                // 000000004BB0: 20080881
	s_cmp_eq_u32 s88, 0                                        // 000000004BB4: BF068058
	s_cselect_b32 s61, 2, 4                                    // 000000004BB8: 853D8482
	v_mul_lo_u32 v4, v4, s61                                   // 000000004BBC: D2850004 00007B04
	v_and_b32_e64 v5, v0, 1                                    // 000000004BC4: D1130005 00010300
	v_add_u32_e32 v4, v4, v5                                   // 000000004BCC: 68080B04
	v_lshlrev_b32_e32 v4, 2, v4                                // 000000004BD0: 24080882
	v_add_u32_e32 v46, v46, v4                                 // 000000004BD4: 685C092E
	v_add_u32_e32 v47, v47, v4                                 // 000000004BD8: 685E092F
	v_add_u32_e32 v48, v48, v4                                 // 000000004BDC: 68600930
	v_add_u32_e32 v49, v49, v4                                 // 000000004BE0: 68620931
	v_add_u32_e32 v50, v50, v4                                 // 000000004BE4: 68640932
	v_add_u32_e32 v51, v51, v4                                 // 000000004BE8: 68660933
	v_add_u32_e32 v52, v52, v4                                 // 000000004BEC: 68680934
	v_add_u32_e32 v53, v53, v4                                 // 000000004BF0: 686A0935
	s_waitcnt lgkmcnt(0)                                       // 000000004BF4: BF8CC07F
	s_barrier                                                  // 000000004BF8: BF8A0000
	ds_read_b32 v56, v21                                       // 000000004BFC: D86C0000 38000015
	ds_read_b32 v57, v21 offset:64                             // 000000004C04: D86C0040 39000015
	ds_read_b32 v58, v21 offset:2176                           // 000000004C0C: D86C0880 3A000015
	ds_read_b32 v59, v21 offset:2240                           // 000000004C14: D86C08C0 3B000015
	ds_read_b32 v60, v21 offset:4352                           // 000000004C1C: D86C1100 3C000015
	ds_read_b32 v61, v21 offset:4416                           // 000000004C24: D86C1140 3D000015
	ds_read_b32 v62, v21 offset:6528                           // 000000004C2C: D86C1980 3E000015
	ds_read_b32 v63, v21 offset:6592                           // 000000004C34: D86C19C0 3F000015
	s_waitcnt lgkmcnt(0)                                       // 000000004C3C: BF8CC07F
	s_mov_b32 s36, -1                                          // 000000004C40: BEA400C1
	s_mov_b32 s37, -1                                          // 000000004C44: BEA500C1
	v_mov_b32_e32 v7, 0                                        // 000000004C48: 7E0E0280
	s_or_b32 s9, s9, 0x40000                                   // 000000004C4C: 8709FF09 00040000
	s_mov_b64 exec, s[36:37]                                   // 000000004C54: BEFE0124
	v_mov_b32_e32 v6, v46                                      // 000000004C58: 7E0C032E
	s_mov_b64 s[60:61], 0                                      // 000000004C5C: BEBC0180
	v_readlane_b32 s82, v3, 0                                  // 000000004C60: D2890052 00010103
	s_and_b32 s82, s82, 0xffffff                               // 000000004C68: 8652FF52 00FFFFFF
	s_cmp_lt_u32 s82, s66                                      // 000000004C70: BF0A4252
	s_cselect_b32 s20, s36, s60                                // 000000004C74: 85143C24
	v_readlane_b32 s82, v3, 1                                  // 000000004C78: D2890052 00010303
	s_and_b32 s82, s82, 0xffffff                               // 000000004C80: 8652FF52 00FFFFFF
	s_cmp_lt_u32 s82, s66                                      // 000000004C88: BF0A4252
	s_cselect_b32 s21, s36, s60                                // 000000004C8C: 85153C24
	s_mov_b64 exec, s[20:21]                                   // 000000004C90: BEFE0114
	buffer_store_dword v56, v6, s[8:11], 0 offen               // 000000004C94: E0701000 80023806
	s_mov_b64 exec, s[36:37]                                   // 000000004C9C: BEFE0124
	v_mov_b32_e32 v6, v47                                      // 000000004CA0: 7E0C032F
	s_mov_b64 s[60:61], 0                                      // 000000004CA4: BEBC0180
	v_readlane_b32 s82, v3, 2                                  // 000000004CA8: D2890052 00010503
	s_and_b32 s82, s82, 0xffffff                               // 000000004CB0: 8652FF52 00FFFFFF
	s_cmp_lt_u32 s82, s66                                      // 000000004CB8: BF0A4252
	s_cselect_b32 s20, s36, s60                                // 000000004CBC: 85143C24
	v_readlane_b32 s82, v3, 3                                  // 000000004CC0: D2890052 00010703
	s_and_b32 s82, s82, 0xffffff                               // 000000004CC8: 8652FF52 00FFFFFF
	s_cmp_lt_u32 s82, s66                                      // 000000004CD0: BF0A4252
	s_cselect_b32 s21, s36, s60                                // 000000004CD4: 85153C24
	s_mov_b64 exec, s[20:21]                                   // 000000004CD8: BEFE0114
	buffer_store_dword v57, v6, s[8:11], 0 offen               // 000000004CDC: E0701000 80023906
	s_mov_b64 exec, s[36:37]                                   // 000000004CE4: BEFE0124
	v_mov_b32_e32 v6, v48                                      // 000000004CE8: 7E0C0330
	s_mov_b64 s[60:61], 0                                      // 000000004CEC: BEBC0180
	v_readlane_b32 s82, v3, 4                                  // 000000004CF0: D2890052 00010903
	s_and_b32 s82, s82, 0xffffff                               // 000000004CF8: 8652FF52 00FFFFFF
	s_cmp_lt_u32 s82, s66                                      // 000000004D00: BF0A4252
	s_cselect_b32 s20, s36, s60                                // 000000004D04: 85143C24
	v_readlane_b32 s82, v3, 5                                  // 000000004D08: D2890052 00010B03
	s_and_b32 s82, s82, 0xffffff                               // 000000004D10: 8652FF52 00FFFFFF
	s_cmp_lt_u32 s82, s66                                      // 000000004D18: BF0A4252
	s_cselect_b32 s21, s36, s60                                // 000000004D1C: 85153C24
	s_mov_b64 exec, s[20:21]                                   // 000000004D20: BEFE0114
	buffer_store_dword v58, v6, s[8:11], 0 offen               // 000000004D24: E0701000 80023A06
	s_mov_b64 exec, s[36:37]                                   // 000000004D2C: BEFE0124
	v_mov_b32_e32 v6, v49                                      // 000000004D30: 7E0C0331
	s_mov_b64 s[60:61], 0                                      // 000000004D34: BEBC0180
	v_readlane_b32 s82, v3, 6                                  // 000000004D38: D2890052 00010D03
	s_and_b32 s82, s82, 0xffffff                               // 000000004D40: 8652FF52 00FFFFFF
	s_cmp_lt_u32 s82, s66                                      // 000000004D48: BF0A4252
	s_cselect_b32 s20, s36, s60                                // 000000004D4C: 85143C24
	v_readlane_b32 s82, v3, 7                                  // 000000004D50: D2890052 00010F03
	s_and_b32 s82, s82, 0xffffff                               // 000000004D58: 8652FF52 00FFFFFF
	s_cmp_lt_u32 s82, s66                                      // 000000004D60: BF0A4252
	s_cselect_b32 s21, s36, s60                                // 000000004D64: 85153C24
	s_mov_b64 exec, s[20:21]                                   // 000000004D68: BEFE0114
	buffer_store_dword v59, v6, s[8:11], 0 offen               // 000000004D6C: E0701000 80023B06
	s_mov_b64 exec, s[36:37]                                   // 000000004D74: BEFE0124
	v_mov_b32_e32 v6, v50                                      // 000000004D78: 7E0C0332
	s_mov_b64 s[60:61], 0                                      // 000000004D7C: BEBC0180
	v_readlane_b32 s82, v3, 8                                  // 000000004D80: D2890052 00011103
	s_and_b32 s82, s82, 0xffffff                               // 000000004D88: 8652FF52 00FFFFFF
	s_cmp_lt_u32 s82, s66                                      // 000000004D90: BF0A4252
	s_cselect_b32 s20, s36, s60                                // 000000004D94: 85143C24
	v_readlane_b32 s82, v3, 9                                  // 000000004D98: D2890052 00011303
	s_and_b32 s82, s82, 0xffffff                               // 000000004DA0: 8652FF52 00FFFFFF
	s_cmp_lt_u32 s82, s66                                      // 000000004DA8: BF0A4252
	s_cselect_b32 s21, s36, s60                                // 000000004DAC: 85153C24
	s_mov_b64 exec, s[20:21]                                   // 000000004DB0: BEFE0114
	buffer_store_dword v60, v6, s[8:11], 0 offen               // 000000004DB4: E0701000 80023C06
	s_mov_b64 exec, s[36:37]                                   // 000000004DBC: BEFE0124
	v_mov_b32_e32 v6, v51                                      // 000000004DC0: 7E0C0333
	s_mov_b64 s[60:61], 0                                      // 000000004DC4: BEBC0180
	v_readlane_b32 s82, v3, 10                                 // 000000004DC8: D2890052 00011503
	s_and_b32 s82, s82, 0xffffff                               // 000000004DD0: 8652FF52 00FFFFFF
	s_cmp_lt_u32 s82, s66                                      // 000000004DD8: BF0A4252
	s_cselect_b32 s20, s36, s60                                // 000000004DDC: 85143C24
	v_readlane_b32 s82, v3, 11                                 // 000000004DE0: D2890052 00011703
	s_and_b32 s82, s82, 0xffffff                               // 000000004DE8: 8652FF52 00FFFFFF
	s_cmp_lt_u32 s82, s66                                      // 000000004DF0: BF0A4252
	s_cselect_b32 s21, s36, s60                                // 000000004DF4: 85153C24
	s_mov_b64 exec, s[20:21]                                   // 000000004DF8: BEFE0114
	buffer_store_dword v61, v6, s[8:11], 0 offen               // 000000004DFC: E0701000 80023D06
	s_mov_b64 exec, s[36:37]                                   // 000000004E04: BEFE0124
	v_mov_b32_e32 v6, v52                                      // 000000004E08: 7E0C0334
	s_mov_b64 s[60:61], 0                                      // 000000004E0C: BEBC0180
	v_readlane_b32 s82, v3, 12                                 // 000000004E10: D2890052 00011903
	s_and_b32 s82, s82, 0xffffff                               // 000000004E18: 8652FF52 00FFFFFF
	s_cmp_lt_u32 s82, s66                                      // 000000004E20: BF0A4252
	s_cselect_b32 s20, s36, s60                                // 000000004E24: 85143C24
	v_readlane_b32 s82, v3, 13                                 // 000000004E28: D2890052 00011B03
	s_and_b32 s82, s82, 0xffffff                               // 000000004E30: 8652FF52 00FFFFFF
	s_cmp_lt_u32 s82, s66                                      // 000000004E38: BF0A4252
	s_cselect_b32 s21, s36, s60                                // 000000004E3C: 85153C24
	s_mov_b64 exec, s[20:21]                                   // 000000004E40: BEFE0114
	buffer_store_dword v62, v6, s[8:11], 0 offen               // 000000004E44: E0701000 80023E06
	s_mov_b64 exec, s[36:37]                                   // 000000004E4C: BEFE0124
	v_mov_b32_e32 v6, v53                                      // 000000004E50: 7E0C0335
	s_mov_b64 s[60:61], 0                                      // 000000004E54: BEBC0180
	v_readlane_b32 s82, v3, 14                                 // 000000004E58: D2890052 00011D03
	s_and_b32 s82, s82, 0xffffff                               // 000000004E60: 8652FF52 00FFFFFF
	s_cmp_lt_u32 s82, s66                                      // 000000004E68: BF0A4252
	s_cselect_b32 s20, s36, s60                                // 000000004E6C: 85143C24
	v_readlane_b32 s82, v3, 15                                 // 000000004E70: D2890052 00011F03
	s_and_b32 s82, s82, 0xffffff                               // 000000004E78: 8652FF52 00FFFFFF
	s_cmp_lt_u32 s82, s66                                      // 000000004E80: BF0A4252
	s_cselect_b32 s21, s36, s60                                // 000000004E84: 85153C24
	s_mov_b64 exec, s[20:21]                                   // 000000004E88: BEFE0114
	buffer_store_dword v63, v6, s[8:11], 0 offen               // 000000004E8C: E0701000 80023F06
	s_mov_b64 exec, s[36:37]                                   // 000000004E94: BEFE0124
	s_branch label_16F0                                        // 000000004E98: BF820DC6

0000000000004e9c <label_0927>:
	ds_write_b64 v20, v[56:57]                                 // 000000004E9C: D89A0000 00003814
	ds_write_b64 v20, v[60:61] offset:2176                     // 000000004EA4: D89A0880 00003C14
	ds_write_b64 v20, v[64:65] offset:4352                     // 000000004EAC: D89A1100 00004014
	ds_write_b64 v20, v[68:69] offset:6528                     // 000000004EB4: D89A1980 00004414
	v_lshrrev_b32_e32 v4, 5, v0                                // 000000004EBC: 20080085
	v_xor_b32_e32 v5, 1, v4                                    // 000000004EC0: 2A0A0881
	s_mul_i32 s60, s65, 2                                      // 000000004EC4: 923C8241
	s_cmp_eq_u32 s88, 0                                        // 000000004EC8: BF068058
	s_cselect_b32 s61, 1, 4                                    // 000000004ECC: 853D8481
	s_mul_i32 s60, s61, s60                                    // 000000004ED0: 923C3C3D
	v_readlane_b32 s82, v3, 0                                  // 000000004ED4: D2890052 00010103
	s_lshr_b32 s61, s82, 24                                    // 000000004EDC: 8F3D9852
	s_and_b32 s82, s82, 0xffffff                               // 000000004EE0: 8652FF52 00FFFFFF
	s_mul_i32 s82, s82, s71                                    // 000000004EE8: 92524752
	s_mul_i32 s61, s60, s61                                    // 000000004EEC: 923D3D3C
	s_add_u32 s82, s82, s61                                    // 000000004EF0: 80523D52
	v_mul_lo_u32 v6, v5, s82                                   // 000000004EF4: D2850006 0000A505
	v_readlane_b32 s82, v3, 1                                  // 000000004EFC: D2890052 00010303
	s_lshr_b32 s61, s82, 24                                    // 000000004F04: 8F3D9852
	s_and_b32 s82, s82, 0xffffff                               // 000000004F08: 8652FF52 00FFFFFF
	s_mul_i32 s82, s82, s71                                    // 000000004F10: 92524752
	s_mul_i32 s61, s60, s61                                    // 000000004F14: 923D3D3C
	s_add_u32 s82, s82, s61                                    // 000000004F18: 80523D52
	v_mul_lo_u32 v7, v4, s82                                   // 000000004F1C: D2850007 0000A504
	v_add_u32_e32 v46, v6, v7                                  // 000000004F24: 685C0F06
	v_readlane_b32 s82, v3, 2                                  // 000000004F28: D2890052 00010503
	s_lshr_b32 s61, s82, 24                                    // 000000004F30: 8F3D9852
	s_and_b32 s82, s82, 0xffffff                               // 000000004F34: 8652FF52 00FFFFFF
	s_mul_i32 s82, s82, s71                                    // 000000004F3C: 92524752
	s_mul_i32 s61, s60, s61                                    // 000000004F40: 923D3D3C
	s_add_u32 s82, s82, s61                                    // 000000004F44: 80523D52
	v_mul_lo_u32 v6, v5, s82                                   // 000000004F48: D2850006 0000A505
	v_readlane_b32 s82, v3, 3                                  // 000000004F50: D2890052 00010703
	s_lshr_b32 s61, s82, 24                                    // 000000004F58: 8F3D9852
	s_and_b32 s82, s82, 0xffffff                               // 000000004F5C: 8652FF52 00FFFFFF
	s_mul_i32 s82, s82, s71                                    // 000000004F64: 92524752
	s_mul_i32 s61, s60, s61                                    // 000000004F68: 923D3D3C
	s_add_u32 s82, s82, s61                                    // 000000004F6C: 80523D52
	v_mul_lo_u32 v7, v4, s82                                   // 000000004F70: D2850007 0000A504
	v_add_u32_e32 v47, v6, v7                                  // 000000004F78: 685E0F06
	v_readlane_b32 s82, v3, 4                                  // 000000004F7C: D2890052 00010903
	s_lshr_b32 s61, s82, 24                                    // 000000004F84: 8F3D9852
	s_and_b32 s82, s82, 0xffffff                               // 000000004F88: 8652FF52 00FFFFFF
	s_mul_i32 s82, s82, s71                                    // 000000004F90: 92524752
	s_mul_i32 s61, s60, s61                                    // 000000004F94: 923D3D3C
	s_add_u32 s82, s82, s61                                    // 000000004F98: 80523D52
	v_mul_lo_u32 v6, v5, s82                                   // 000000004F9C: D2850006 0000A505
	v_readlane_b32 s82, v3, 5                                  // 000000004FA4: D2890052 00010B03
	s_lshr_b32 s61, s82, 24                                    // 000000004FAC: 8F3D9852
	s_and_b32 s82, s82, 0xffffff                               // 000000004FB0: 8652FF52 00FFFFFF
	s_mul_i32 s82, s82, s71                                    // 000000004FB8: 92524752
	s_mul_i32 s61, s60, s61                                    // 000000004FBC: 923D3D3C
	s_add_u32 s82, s82, s61                                    // 000000004FC0: 80523D52
	v_mul_lo_u32 v7, v4, s82                                   // 000000004FC4: D2850007 0000A504
	v_add_u32_e32 v48, v6, v7                                  // 000000004FCC: 68600F06
	v_readlane_b32 s82, v3, 6                                  // 000000004FD0: D2890052 00010D03
	s_lshr_b32 s61, s82, 24                                    // 000000004FD8: 8F3D9852
	s_and_b32 s82, s82, 0xffffff                               // 000000004FDC: 8652FF52 00FFFFFF
	s_mul_i32 s82, s82, s71                                    // 000000004FE4: 92524752
	s_mul_i32 s61, s60, s61                                    // 000000004FE8: 923D3D3C
	s_add_u32 s82, s82, s61                                    // 000000004FEC: 80523D52
	v_mul_lo_u32 v6, v5, s82                                   // 000000004FF0: D2850006 0000A505
	v_readlane_b32 s82, v3, 7                                  // 000000004FF8: D2890052 00010F03
	s_lshr_b32 s61, s82, 24                                    // 000000005000: 8F3D9852
	s_and_b32 s82, s82, 0xffffff                               // 000000005004: 8652FF52 00FFFFFF
	s_mul_i32 s82, s82, s71                                    // 00000000500C: 92524752
	s_mul_i32 s61, s60, s61                                    // 000000005010: 923D3D3C
	s_add_u32 s82, s82, s61                                    // 000000005014: 80523D52
	v_mul_lo_u32 v7, v4, s82                                   // 000000005018: D2850007 0000A504
	v_add_u32_e32 v49, v6, v7                                  // 000000005020: 68620F06
	v_readlane_b32 s82, v3, 8                                  // 000000005024: D2890052 00011103
	s_lshr_b32 s61, s82, 24                                    // 00000000502C: 8F3D9852
	s_and_b32 s82, s82, 0xffffff                               // 000000005030: 8652FF52 00FFFFFF
	s_mul_i32 s82, s82, s71                                    // 000000005038: 92524752
	s_mul_i32 s61, s60, s61                                    // 00000000503C: 923D3D3C
	s_add_u32 s82, s82, s61                                    // 000000005040: 80523D52
	v_mul_lo_u32 v6, v5, s82                                   // 000000005044: D2850006 0000A505
	v_readlane_b32 s82, v3, 9                                  // 00000000504C: D2890052 00011303
	s_lshr_b32 s61, s82, 24                                    // 000000005054: 8F3D9852
	s_and_b32 s82, s82, 0xffffff                               // 000000005058: 8652FF52 00FFFFFF
	s_mul_i32 s82, s82, s71                                    // 000000005060: 92524752
	s_mul_i32 s61, s60, s61                                    // 000000005064: 923D3D3C
	s_add_u32 s82, s82, s61                                    // 000000005068: 80523D52
	v_mul_lo_u32 v7, v4, s82                                   // 00000000506C: D2850007 0000A504
	v_add_u32_e32 v50, v6, v7                                  // 000000005074: 68640F06
	v_readlane_b32 s82, v3, 10                                 // 000000005078: D2890052 00011503
	s_lshr_b32 s61, s82, 24                                    // 000000005080: 8F3D9852
	s_and_b32 s82, s82, 0xffffff                               // 000000005084: 8652FF52 00FFFFFF
	s_mul_i32 s82, s82, s71                                    // 00000000508C: 92524752
	s_mul_i32 s61, s60, s61                                    // 000000005090: 923D3D3C
	s_add_u32 s82, s82, s61                                    // 000000005094: 80523D52
	v_mul_lo_u32 v6, v5, s82                                   // 000000005098: D2850006 0000A505
	v_readlane_b32 s82, v3, 11                                 // 0000000050A0: D2890052 00011703
	s_lshr_b32 s61, s82, 24                                    // 0000000050A8: 8F3D9852
	s_and_b32 s82, s82, 0xffffff                               // 0000000050AC: 8652FF52 00FFFFFF
	s_mul_i32 s82, s82, s71                                    // 0000000050B4: 92524752
	s_mul_i32 s61, s60, s61                                    // 0000000050B8: 923D3D3C
	s_add_u32 s82, s82, s61                                    // 0000000050BC: 80523D52
	v_mul_lo_u32 v7, v4, s82                                   // 0000000050C0: D2850007 0000A504
	v_add_u32_e32 v51, v6, v7                                  // 0000000050C8: 68660F06
	v_readlane_b32 s82, v3, 12                                 // 0000000050CC: D2890052 00011903
	s_lshr_b32 s61, s82, 24                                    // 0000000050D4: 8F3D9852
	s_and_b32 s82, s82, 0xffffff                               // 0000000050D8: 8652FF52 00FFFFFF
	s_mul_i32 s82, s82, s71                                    // 0000000050E0: 92524752
	s_mul_i32 s61, s60, s61                                    // 0000000050E4: 923D3D3C
	s_add_u32 s82, s82, s61                                    // 0000000050E8: 80523D52
	v_mul_lo_u32 v6, v5, s82                                   // 0000000050EC: D2850006 0000A505
	v_readlane_b32 s82, v3, 13                                 // 0000000050F4: D2890052 00011B03
	s_lshr_b32 s61, s82, 24                                    // 0000000050FC: 8F3D9852
	s_and_b32 s82, s82, 0xffffff                               // 000000005100: 8652FF52 00FFFFFF
	s_mul_i32 s82, s82, s71                                    // 000000005108: 92524752
	s_mul_i32 s61, s60, s61                                    // 00000000510C: 923D3D3C
	s_add_u32 s82, s82, s61                                    // 000000005110: 80523D52
	v_mul_lo_u32 v7, v4, s82                                   // 000000005114: D2850007 0000A504
	v_add_u32_e32 v52, v6, v7                                  // 00000000511C: 68680F06
	v_readlane_b32 s82, v3, 14                                 // 000000005120: D2890052 00011D03
	s_lshr_b32 s61, s82, 24                                    // 000000005128: 8F3D9852
	s_and_b32 s82, s82, 0xffffff                               // 00000000512C: 8652FF52 00FFFFFF
	s_mul_i32 s82, s82, s71                                    // 000000005134: 92524752
	s_mul_i32 s61, s60, s61                                    // 000000005138: 923D3D3C
	s_add_u32 s82, s82, s61                                    // 00000000513C: 80523D52
	v_mul_lo_u32 v6, v5, s82                                   // 000000005140: D2850006 0000A505
	v_readlane_b32 s82, v3, 15                                 // 000000005148: D2890052 00011F03
	s_lshr_b32 s61, s82, 24                                    // 000000005150: 8F3D9852
	s_and_b32 s82, s82, 0xffffff                               // 000000005154: 8652FF52 00FFFFFF
	s_mul_i32 s82, s82, s71                                    // 00000000515C: 92524752
	s_mul_i32 s61, s60, s61                                    // 000000005160: 923D3D3C
	s_add_u32 s82, s82, s61                                    // 000000005164: 80523D52
	v_mul_lo_u32 v7, v4, s82                                   // 000000005168: D2850007 0000A504
	v_add_u32_e32 v53, v6, v7                                  // 000000005170: 686A0F06
	v_and_b32_e32 v4, 31, v0                                   // 000000005174: 2608009F
	v_lshrrev_b32_e32 v4, 1, v4                                // 000000005178: 20080881
	s_cmp_eq_u32 s88, 0                                        // 00000000517C: BF068058
	s_cselect_b32 s61, 2, 4                                    // 000000005180: 853D8482
	v_mul_lo_u32 v4, v4, s61                                   // 000000005184: D2850004 00007B04
	v_and_b32_e64 v5, v0, 1                                    // 00000000518C: D1130005 00010300
	v_add_u32_e32 v4, v4, v5                                   // 000000005194: 68080B04
	v_lshlrev_b32_e32 v4, 2, v4                                // 000000005198: 24080882
	v_add_u32_e32 v46, v46, v4                                 // 00000000519C: 685C092E
	v_add_u32_e32 v47, v47, v4                                 // 0000000051A0: 685E092F
	v_add_u32_e32 v48, v48, v4                                 // 0000000051A4: 68600930
	v_add_u32_e32 v49, v49, v4                                 // 0000000051A8: 68620931
	v_add_u32_e32 v50, v50, v4                                 // 0000000051AC: 68640932
	v_add_u32_e32 v51, v51, v4                                 // 0000000051B0: 68660933
	v_add_u32_e32 v52, v52, v4                                 // 0000000051B4: 68680934
	v_add_u32_e32 v53, v53, v4                                 // 0000000051B8: 686A0935
	s_waitcnt lgkmcnt(0)                                       // 0000000051BC: BF8CC07F
	s_barrier                                                  // 0000000051C0: BF8A0000
	ds_read_b32 v56, v21                                       // 0000000051C4: D86C0000 38000015
	ds_read_b32 v57, v21 offset:64                             // 0000000051CC: D86C0040 39000015
	ds_read_b32 v60, v21 offset:2176                           // 0000000051D4: D86C0880 3C000015
	ds_read_b32 v61, v21 offset:2240                           // 0000000051DC: D86C08C0 3D000015
	ds_read_b32 v64, v21 offset:4352                           // 0000000051E4: D86C1100 40000015
	ds_read_b32 v65, v21 offset:4416                           // 0000000051EC: D86C1140 41000015
	ds_read_b32 v68, v21 offset:6528                           // 0000000051F4: D86C1980 44000015
	ds_read_b32 v69, v21 offset:6592                           // 0000000051FC: D86C19C0 45000015
	s_waitcnt lgkmcnt(0)                                       // 000000005204: BF8CC07F
	s_mov_b32 s36, -1                                          // 000000005208: BEA400C1
	s_mov_b32 s37, -1                                          // 00000000520C: BEA500C1
	v_mov_b32_e32 v7, 0                                        // 000000005210: 7E0E0280
	s_mov_b64 exec, s[36:37]                                   // 000000005214: BEFE0124
	v_mov_b32_e32 v6, v46                                      // 000000005218: 7E0C032E
	s_mov_b64 s[60:61], 0                                      // 00000000521C: BEBC0180
	v_readlane_b32 s82, v3, 0                                  // 000000005220: D2890052 00010103
	s_and_b32 s82, s82, 0xffffff                               // 000000005228: 8652FF52 00FFFFFF
	s_cmp_lt_u32 s82, s66                                      // 000000005230: BF0A4252
	s_cselect_b32 s20, s36, s60                                // 000000005234: 85143C24
	v_readlane_b32 s82, v3, 1                                  // 000000005238: D2890052 00010303
	s_and_b32 s82, s82, 0xffffff                               // 000000005240: 8652FF52 00FFFFFF
	s_cmp_lt_u32 s82, s66                                      // 000000005248: BF0A4252
	s_cselect_b32 s21, s36, s60                                // 00000000524C: 85153C24
	s_mov_b64 exec, s[20:21]                                   // 000000005250: BEFE0114
	global_atomic_add_f32 v6, v56, s[8:9]                      // 000000005254: DD348000 00083806
	s_mov_b64 exec, s[36:37]                                   // 00000000525C: BEFE0124
	v_mov_b32_e32 v6, v47                                      // 000000005260: 7E0C032F
	s_mov_b64 s[60:61], 0                                      // 000000005264: BEBC0180
	v_readlane_b32 s82, v3, 2                                  // 000000005268: D2890052 00010503
	s_and_b32 s82, s82, 0xffffff                               // 000000005270: 8652FF52 00FFFFFF
	s_cmp_lt_u32 s82, s66                                      // 000000005278: BF0A4252
	s_cselect_b32 s20, s36, s60                                // 00000000527C: 85143C24
	v_readlane_b32 s82, v3, 3                                  // 000000005280: D2890052 00010703
	s_and_b32 s82, s82, 0xffffff                               // 000000005288: 8652FF52 00FFFFFF
	s_cmp_lt_u32 s82, s66                                      // 000000005290: BF0A4252
	s_cselect_b32 s21, s36, s60                                // 000000005294: 85153C24
	s_mov_b64 exec, s[20:21]                                   // 000000005298: BEFE0114
	global_atomic_add_f32 v6, v57, s[8:9]                      // 00000000529C: DD348000 00083906
	s_mov_b64 exec, s[36:37]                                   // 0000000052A4: BEFE0124
	v_mov_b32_e32 v6, v48                                      // 0000000052A8: 7E0C0330
	s_mov_b64 s[60:61], 0                                      // 0000000052AC: BEBC0180
	v_readlane_b32 s82, v3, 4                                  // 0000000052B0: D2890052 00010903
	s_and_b32 s82, s82, 0xffffff                               // 0000000052B8: 8652FF52 00FFFFFF
	s_cmp_lt_u32 s82, s66                                      // 0000000052C0: BF0A4252
	s_cselect_b32 s20, s36, s60                                // 0000000052C4: 85143C24
	v_readlane_b32 s82, v3, 5                                  // 0000000052C8: D2890052 00010B03
	s_and_b32 s82, s82, 0xffffff                               // 0000000052D0: 8652FF52 00FFFFFF
	s_cmp_lt_u32 s82, s66                                      // 0000000052D8: BF0A4252
	s_cselect_b32 s21, s36, s60                                // 0000000052DC: 85153C24
	s_mov_b64 exec, s[20:21]                                   // 0000000052E0: BEFE0114
	global_atomic_add_f32 v6, v60, s[8:9]                      // 0000000052E4: DD348000 00083C06
	s_mov_b64 exec, s[36:37]                                   // 0000000052EC: BEFE0124
	v_mov_b32_e32 v6, v49                                      // 0000000052F0: 7E0C0331
	s_mov_b64 s[60:61], 0                                      // 0000000052F4: BEBC0180
	v_readlane_b32 s82, v3, 6                                  // 0000000052F8: D2890052 00010D03
	s_and_b32 s82, s82, 0xffffff                               // 000000005300: 8652FF52 00FFFFFF
	s_cmp_lt_u32 s82, s66                                      // 000000005308: BF0A4252
	s_cselect_b32 s20, s36, s60                                // 00000000530C: 85143C24
	v_readlane_b32 s82, v3, 7                                  // 000000005310: D2890052 00010F03
	s_and_b32 s82, s82, 0xffffff                               // 000000005318: 8652FF52 00FFFFFF
	s_cmp_lt_u32 s82, s66                                      // 000000005320: BF0A4252
	s_cselect_b32 s21, s36, s60                                // 000000005324: 85153C24
	s_mov_b64 exec, s[20:21]                                   // 000000005328: BEFE0114
	global_atomic_add_f32 v6, v61, s[8:9]                      // 00000000532C: DD348000 00083D06
	s_mov_b64 exec, s[36:37]                                   // 000000005334: BEFE0124
	v_mov_b32_e32 v6, v50                                      // 000000005338: 7E0C0332
	s_mov_b64 s[60:61], 0                                      // 00000000533C: BEBC0180
	v_readlane_b32 s82, v3, 8                                  // 000000005340: D2890052 00011103
	s_and_b32 s82, s82, 0xffffff                               // 000000005348: 8652FF52 00FFFFFF
	s_cmp_lt_u32 s82, s66                                      // 000000005350: BF0A4252
	s_cselect_b32 s20, s36, s60                                // 000000005354: 85143C24
	v_readlane_b32 s82, v3, 9                                  // 000000005358: D2890052 00011303
	s_and_b32 s82, s82, 0xffffff                               // 000000005360: 8652FF52 00FFFFFF
	s_cmp_lt_u32 s82, s66                                      // 000000005368: BF0A4252
	s_cselect_b32 s21, s36, s60                                // 00000000536C: 85153C24
	s_mov_b64 exec, s[20:21]                                   // 000000005370: BEFE0114
	global_atomic_add_f32 v6, v64, s[8:9]                      // 000000005374: DD348000 00084006
	s_mov_b64 exec, s[36:37]                                   // 00000000537C: BEFE0124
	v_mov_b32_e32 v6, v51                                      // 000000005380: 7E0C0333
	s_mov_b64 s[60:61], 0                                      // 000000005384: BEBC0180
	v_readlane_b32 s82, v3, 10                                 // 000000005388: D2890052 00011503
	s_and_b32 s82, s82, 0xffffff                               // 000000005390: 8652FF52 00FFFFFF
	s_cmp_lt_u32 s82, s66                                      // 000000005398: BF0A4252
	s_cselect_b32 s20, s36, s60                                // 00000000539C: 85143C24
	v_readlane_b32 s82, v3, 11                                 // 0000000053A0: D2890052 00011703
	s_and_b32 s82, s82, 0xffffff                               // 0000000053A8: 8652FF52 00FFFFFF
	s_cmp_lt_u32 s82, s66                                      // 0000000053B0: BF0A4252
	s_cselect_b32 s21, s36, s60                                // 0000000053B4: 85153C24
	s_mov_b64 exec, s[20:21]                                   // 0000000053B8: BEFE0114
	global_atomic_add_f32 v6, v65, s[8:9]                      // 0000000053BC: DD348000 00084106
	s_mov_b64 exec, s[36:37]                                   // 0000000053C4: BEFE0124
	v_mov_b32_e32 v6, v52                                      // 0000000053C8: 7E0C0334
	s_mov_b64 s[60:61], 0                                      // 0000000053CC: BEBC0180
	v_readlane_b32 s82, v3, 12                                 // 0000000053D0: D2890052 00011903
	s_and_b32 s82, s82, 0xffffff                               // 0000000053D8: 8652FF52 00FFFFFF
	s_cmp_lt_u32 s82, s66                                      // 0000000053E0: BF0A4252
	s_cselect_b32 s20, s36, s60                                // 0000000053E4: 85143C24
	v_readlane_b32 s82, v3, 13                                 // 0000000053E8: D2890052 00011B03
	s_and_b32 s82, s82, 0xffffff                               // 0000000053F0: 8652FF52 00FFFFFF
	s_cmp_lt_u32 s82, s66                                      // 0000000053F8: BF0A4252
	s_cselect_b32 s21, s36, s60                                // 0000000053FC: 85153C24
	s_mov_b64 exec, s[20:21]                                   // 000000005400: BEFE0114
	global_atomic_add_f32 v6, v68, s[8:9]                      // 000000005404: DD348000 00084406
	s_mov_b64 exec, s[36:37]                                   // 00000000540C: BEFE0124
	v_mov_b32_e32 v6, v53                                      // 000000005410: 7E0C0335
	s_mov_b64 s[60:61], 0                                      // 000000005414: BEBC0180
	v_readlane_b32 s82, v3, 14                                 // 000000005418: D2890052 00011D03
	s_and_b32 s82, s82, 0xffffff                               // 000000005420: 8652FF52 00FFFFFF
	s_cmp_lt_u32 s82, s66                                      // 000000005428: BF0A4252
	s_cselect_b32 s20, s36, s60                                // 00000000542C: 85143C24
	v_readlane_b32 s82, v3, 15                                 // 000000005430: D2890052 00011F03
	s_and_b32 s82, s82, 0xffffff                               // 000000005438: 8652FF52 00FFFFFF
	s_cmp_lt_u32 s82, s66                                      // 000000005440: BF0A4252
	s_cselect_b32 s21, s36, s60                                // 000000005444: 85153C24
	s_mov_b64 exec, s[20:21]                                   // 000000005448: BEFE0114
	global_atomic_add_f32 v6, v69, s[8:9]                      // 00000000544C: DD348000 00084506
	s_mov_b64 exec, s[36:37]                                   // 000000005454: BEFE0124
	ds_write_b64 v20, v[58:59]                                 // 000000005458: D89A0000 00003A14
	ds_write_b64 v20, v[62:63] offset:2176                     // 000000005460: D89A0880 00003E14
	ds_write_b64 v20, v[66:67] offset:4352                     // 000000005468: D89A1100 00004214
	ds_write_b64 v20, v[70:71] offset:6528                     // 000000005470: D89A1980 00004614
	s_waitcnt lgkmcnt(0)                                       // 000000005478: BF8CC07F
	s_barrier                                                  // 00000000547C: BF8A0000
	ds_read_b32 v58, v21                                       // 000000005480: D86C0000 3A000015
	ds_read_b32 v59, v21 offset:64                             // 000000005488: D86C0040 3B000015
	ds_read_b32 v62, v21 offset:2176                           // 000000005490: D86C0880 3E000015
	ds_read_b32 v63, v21 offset:2240                           // 000000005498: D86C08C0 3F000015
	ds_read_b32 v66, v21 offset:4352                           // 0000000054A0: D86C1100 42000015
	ds_read_b32 v67, v21 offset:4416                           // 0000000054A8: D86C1140 43000015
	ds_read_b32 v70, v21 offset:6528                           // 0000000054B0: D86C1980 46000015
	ds_read_b32 v71, v21 offset:6592                           // 0000000054B8: D86C19C0 47000015
	s_waitcnt lgkmcnt(0)                                       // 0000000054C0: BF8CC07F
	v_mov_b32_e32 v7, 0                                        // 0000000054C4: 7E0E0280
	s_mov_b64 exec, s[36:37]                                   // 0000000054C8: BEFE0124
	v_mov_b32_e32 v6, v46                                      // 0000000054CC: 7E0C032E
	s_mov_b64 s[60:61], 0                                      // 0000000054D0: BEBC0180
	v_readlane_b32 s82, v3, 0                                  // 0000000054D4: D2890052 00010103
	s_and_b32 s82, s82, 0xffffff                               // 0000000054DC: 8652FF52 00FFFFFF
	s_cmp_lt_u32 s82, s66                                      // 0000000054E4: BF0A4252
	s_cselect_b32 s20, s36, s60                                // 0000000054E8: 85143C24
	v_readlane_b32 s82, v3, 1                                  // 0000000054EC: D2890052 00010303
	s_and_b32 s82, s82, 0xffffff                               // 0000000054F4: 8652FF52 00FFFFFF
	s_cmp_lt_u32 s82, s66                                      // 0000000054FC: BF0A4252
	s_cselect_b32 s21, s36, s60                                // 000000005500: 85153C24
	s_mov_b64 exec, s[20:21]                                   // 000000005504: BEFE0114
	global_atomic_add_f32 v6, v58, s[8:9] offset:8             // 000000005508: DD348008 00083A06
	s_mov_b64 exec, s[36:37]                                   // 000000005510: BEFE0124
	v_mov_b32_e32 v6, v47                                      // 000000005514: 7E0C032F
	s_mov_b64 s[60:61], 0                                      // 000000005518: BEBC0180
	v_readlane_b32 s82, v3, 2                                  // 00000000551C: D2890052 00010503
	s_and_b32 s82, s82, 0xffffff                               // 000000005524: 8652FF52 00FFFFFF
	s_cmp_lt_u32 s82, s66                                      // 00000000552C: BF0A4252
	s_cselect_b32 s20, s36, s60                                // 000000005530: 85143C24
	v_readlane_b32 s82, v3, 3                                  // 000000005534: D2890052 00010703
	s_and_b32 s82, s82, 0xffffff                               // 00000000553C: 8652FF52 00FFFFFF
	s_cmp_lt_u32 s82, s66                                      // 000000005544: BF0A4252
	s_cselect_b32 s21, s36, s60                                // 000000005548: 85153C24
	s_mov_b64 exec, s[20:21]                                   // 00000000554C: BEFE0114
	global_atomic_add_f32 v6, v59, s[8:9] offset:8             // 000000005550: DD348008 00083B06
	s_mov_b64 exec, s[36:37]                                   // 000000005558: BEFE0124
	v_mov_b32_e32 v6, v48                                      // 00000000555C: 7E0C0330
	s_mov_b64 s[60:61], 0                                      // 000000005560: BEBC0180
	v_readlane_b32 s82, v3, 4                                  // 000000005564: D2890052 00010903
	s_and_b32 s82, s82, 0xffffff                               // 00000000556C: 8652FF52 00FFFFFF
	s_cmp_lt_u32 s82, s66                                      // 000000005574: BF0A4252
	s_cselect_b32 s20, s36, s60                                // 000000005578: 85143C24
	v_readlane_b32 s82, v3, 5                                  // 00000000557C: D2890052 00010B03
	s_and_b32 s82, s82, 0xffffff                               // 000000005584: 8652FF52 00FFFFFF
	s_cmp_lt_u32 s82, s66                                      // 00000000558C: BF0A4252
	s_cselect_b32 s21, s36, s60                                // 000000005590: 85153C24
	s_mov_b64 exec, s[20:21]                                   // 000000005594: BEFE0114
	global_atomic_add_f32 v6, v62, s[8:9] offset:8             // 000000005598: DD348008 00083E06
	s_mov_b64 exec, s[36:37]                                   // 0000000055A0: BEFE0124
	v_mov_b32_e32 v6, v49                                      // 0000000055A4: 7E0C0331
	s_mov_b64 s[60:61], 0                                      // 0000000055A8: BEBC0180
	v_readlane_b32 s82, v3, 6                                  // 0000000055AC: D2890052 00010D03
	s_and_b32 s82, s82, 0xffffff                               // 0000000055B4: 8652FF52 00FFFFFF
	s_cmp_lt_u32 s82, s66                                      // 0000000055BC: BF0A4252
	s_cselect_b32 s20, s36, s60                                // 0000000055C0: 85143C24
	v_readlane_b32 s82, v3, 7                                  // 0000000055C4: D2890052 00010F03
	s_and_b32 s82, s82, 0xffffff                               // 0000000055CC: 8652FF52 00FFFFFF
	s_cmp_lt_u32 s82, s66                                      // 0000000055D4: BF0A4252
	s_cselect_b32 s21, s36, s60                                // 0000000055D8: 85153C24
	s_mov_b64 exec, s[20:21]                                   // 0000000055DC: BEFE0114
	global_atomic_add_f32 v6, v63, s[8:9] offset:8             // 0000000055E0: DD348008 00083F06
	s_mov_b64 exec, s[36:37]                                   // 0000000055E8: BEFE0124
	v_mov_b32_e32 v6, v50                                      // 0000000055EC: 7E0C0332
	s_mov_b64 s[60:61], 0                                      // 0000000055F0: BEBC0180
	v_readlane_b32 s82, v3, 8                                  // 0000000055F4: D2890052 00011103
	s_and_b32 s82, s82, 0xffffff                               // 0000000055FC: 8652FF52 00FFFFFF
	s_cmp_lt_u32 s82, s66                                      // 000000005604: BF0A4252
	s_cselect_b32 s20, s36, s60                                // 000000005608: 85143C24
	v_readlane_b32 s82, v3, 9                                  // 00000000560C: D2890052 00011303
	s_and_b32 s82, s82, 0xffffff                               // 000000005614: 8652FF52 00FFFFFF
	s_cmp_lt_u32 s82, s66                                      // 00000000561C: BF0A4252
	s_cselect_b32 s21, s36, s60                                // 000000005620: 85153C24
	s_mov_b64 exec, s[20:21]                                   // 000000005624: BEFE0114
	global_atomic_add_f32 v6, v66, s[8:9] offset:8             // 000000005628: DD348008 00084206
	s_mov_b64 exec, s[36:37]                                   // 000000005630: BEFE0124
	v_mov_b32_e32 v6, v51                                      // 000000005634: 7E0C0333
	s_mov_b64 s[60:61], 0                                      // 000000005638: BEBC0180
	v_readlane_b32 s82, v3, 10                                 // 00000000563C: D2890052 00011503
	s_and_b32 s82, s82, 0xffffff                               // 000000005644: 8652FF52 00FFFFFF
	s_cmp_lt_u32 s82, s66                                      // 00000000564C: BF0A4252
	s_cselect_b32 s20, s36, s60                                // 000000005650: 85143C24
	v_readlane_b32 s82, v3, 11                                 // 000000005654: D2890052 00011703
	s_and_b32 s82, s82, 0xffffff                               // 00000000565C: 8652FF52 00FFFFFF
	s_cmp_lt_u32 s82, s66                                      // 000000005664: BF0A4252
	s_cselect_b32 s21, s36, s60                                // 000000005668: 85153C24
	s_mov_b64 exec, s[20:21]                                   // 00000000566C: BEFE0114
	global_atomic_add_f32 v6, v67, s[8:9] offset:8             // 000000005670: DD348008 00084306
	s_mov_b64 exec, s[36:37]                                   // 000000005678: BEFE0124
	v_mov_b32_e32 v6, v52                                      // 00000000567C: 7E0C0334
	s_mov_b64 s[60:61], 0                                      // 000000005680: BEBC0180
	v_readlane_b32 s82, v3, 12                                 // 000000005684: D2890052 00011903
	s_and_b32 s82, s82, 0xffffff                               // 00000000568C: 8652FF52 00FFFFFF
	s_cmp_lt_u32 s82, s66                                      // 000000005694: BF0A4252
	s_cselect_b32 s20, s36, s60                                // 000000005698: 85143C24
	v_readlane_b32 s82, v3, 13                                 // 00000000569C: D2890052 00011B03
	s_and_b32 s82, s82, 0xffffff                               // 0000000056A4: 8652FF52 00FFFFFF
	s_cmp_lt_u32 s82, s66                                      // 0000000056AC: BF0A4252
	s_cselect_b32 s21, s36, s60                                // 0000000056B0: 85153C24
	s_mov_b64 exec, s[20:21]                                   // 0000000056B4: BEFE0114
	global_atomic_add_f32 v6, v70, s[8:9] offset:8             // 0000000056B8: DD348008 00084606
	s_mov_b64 exec, s[36:37]                                   // 0000000056C0: BEFE0124
	v_mov_b32_e32 v6, v53                                      // 0000000056C4: 7E0C0335
	s_mov_b64 s[60:61], 0                                      // 0000000056C8: BEBC0180
	v_readlane_b32 s82, v3, 14                                 // 0000000056CC: D2890052 00011D03
	s_and_b32 s82, s82, 0xffffff                               // 0000000056D4: 8652FF52 00FFFFFF
	s_cmp_lt_u32 s82, s66                                      // 0000000056DC: BF0A4252
	s_cselect_b32 s20, s36, s60                                // 0000000056E0: 85143C24
	v_readlane_b32 s82, v3, 15                                 // 0000000056E4: D2890052 00011F03
	s_and_b32 s82, s82, 0xffffff                               // 0000000056EC: 8652FF52 00FFFFFF
	s_cmp_lt_u32 s82, s66                                      // 0000000056F4: BF0A4252
	s_cselect_b32 s21, s36, s60                                // 0000000056F8: 85153C24
	s_mov_b64 exec, s[20:21]                                   // 0000000056FC: BEFE0114
	global_atomic_add_f32 v6, v71, s[8:9] offset:8             // 000000005700: DD348008 00084706
	s_mov_b64 exec, s[36:37]                                   // 000000005708: BEFE0124
	ds_write_b64 v20, v[72:73]                                 // 00000000570C: D89A0000 00004814
	ds_write_b64 v20, v[76:77] offset:2176                     // 000000005714: D89A0880 00004C14
	ds_write_b64 v20, v[80:81] offset:4352                     // 00000000571C: D89A1100 00005014
	ds_write_b64 v20, v[84:85] offset:6528                     // 000000005724: D89A1980 00005414
	s_waitcnt lgkmcnt(0)                                       // 00000000572C: BF8CC07F
	s_barrier                                                  // 000000005730: BF8A0000
	ds_read_b32 v72, v21                                       // 000000005734: D86C0000 48000015
	ds_read_b32 v73, v21 offset:64                             // 00000000573C: D86C0040 49000015
	ds_read_b32 v76, v21 offset:2176                           // 000000005744: D86C0880 4C000015
	ds_read_b32 v77, v21 offset:2240                           // 00000000574C: D86C08C0 4D000015
	ds_read_b32 v80, v21 offset:4352                           // 000000005754: D86C1100 50000015
	ds_read_b32 v81, v21 offset:4416                           // 00000000575C: D86C1140 51000015
	ds_read_b32 v84, v21 offset:6528                           // 000000005764: D86C1980 54000015
	ds_read_b32 v85, v21 offset:6592                           // 00000000576C: D86C19C0 55000015
	s_mul_i32 s60, s65, 4                                      // 000000005774: 923C8441
	s_add_u32 s8, s60, s8                                      // 000000005778: 8008083C
	s_addc_u32 s9, 0, s9                                       // 00000000577C: 82090980
	s_waitcnt lgkmcnt(0)                                       // 000000005780: BF8CC07F
	v_mov_b32_e32 v7, 0                                        // 000000005784: 7E0E0280
	s_mov_b64 exec, s[36:37]                                   // 000000005788: BEFE0124
	v_mov_b32_e32 v6, v46                                      // 00000000578C: 7E0C032E
	s_mov_b64 s[60:61], 0                                      // 000000005790: BEBC0180
	v_readlane_b32 s82, v3, 0                                  // 000000005794: D2890052 00010103
	s_and_b32 s82, s82, 0xffffff                               // 00000000579C: 8652FF52 00FFFFFF
	s_cmp_lt_u32 s82, s66                                      // 0000000057A4: BF0A4252
	s_cselect_b32 s20, s36, s60                                // 0000000057A8: 85143C24
	v_readlane_b32 s82, v3, 1                                  // 0000000057AC: D2890052 00010303
	s_and_b32 s82, s82, 0xffffff                               // 0000000057B4: 8652FF52 00FFFFFF
	s_cmp_lt_u32 s82, s66                                      // 0000000057BC: BF0A4252
	s_cselect_b32 s21, s36, s60                                // 0000000057C0: 85153C24
	s_mov_b64 exec, s[20:21]                                   // 0000000057C4: BEFE0114
	global_atomic_add_f32 v6, v72, s[8:9]                      // 0000000057C8: DD348000 00084806
	s_mov_b64 exec, s[36:37]                                   // 0000000057D0: BEFE0124
	v_mov_b32_e32 v6, v47                                      // 0000000057D4: 7E0C032F
	s_mov_b64 s[60:61], 0                                      // 0000000057D8: BEBC0180
	v_readlane_b32 s82, v3, 2                                  // 0000000057DC: D2890052 00010503
	s_and_b32 s82, s82, 0xffffff                               // 0000000057E4: 8652FF52 00FFFFFF
	s_cmp_lt_u32 s82, s66                                      // 0000000057EC: BF0A4252
	s_cselect_b32 s20, s36, s60                                // 0000000057F0: 85143C24
	v_readlane_b32 s82, v3, 3                                  // 0000000057F4: D2890052 00010703
	s_and_b32 s82, s82, 0xffffff                               // 0000000057FC: 8652FF52 00FFFFFF
	s_cmp_lt_u32 s82, s66                                      // 000000005804: BF0A4252
	s_cselect_b32 s21, s36, s60                                // 000000005808: 85153C24
	s_mov_b64 exec, s[20:21]                                   // 00000000580C: BEFE0114
	global_atomic_add_f32 v6, v73, s[8:9]                      // 000000005810: DD348000 00084906
	s_mov_b64 exec, s[36:37]                                   // 000000005818: BEFE0124
	v_mov_b32_e32 v6, v48                                      // 00000000581C: 7E0C0330
	s_mov_b64 s[60:61], 0                                      // 000000005820: BEBC0180
	v_readlane_b32 s82, v3, 4                                  // 000000005824: D2890052 00010903
	s_and_b32 s82, s82, 0xffffff                               // 00000000582C: 8652FF52 00FFFFFF
	s_cmp_lt_u32 s82, s66                                      // 000000005834: BF0A4252
	s_cselect_b32 s20, s36, s60                                // 000000005838: 85143C24
	v_readlane_b32 s82, v3, 5                                  // 00000000583C: D2890052 00010B03
	s_and_b32 s82, s82, 0xffffff                               // 000000005844: 8652FF52 00FFFFFF
	s_cmp_lt_u32 s82, s66                                      // 00000000584C: BF0A4252
	s_cselect_b32 s21, s36, s60                                // 000000005850: 85153C24
	s_mov_b64 exec, s[20:21]                                   // 000000005854: BEFE0114
	global_atomic_add_f32 v6, v76, s[8:9]                      // 000000005858: DD348000 00084C06
	s_mov_b64 exec, s[36:37]                                   // 000000005860: BEFE0124
	v_mov_b32_e32 v6, v49                                      // 000000005864: 7E0C0331
	s_mov_b64 s[60:61], 0                                      // 000000005868: BEBC0180
	v_readlane_b32 s82, v3, 6                                  // 00000000586C: D2890052 00010D03
	s_and_b32 s82, s82, 0xffffff                               // 000000005874: 8652FF52 00FFFFFF
	s_cmp_lt_u32 s82, s66                                      // 00000000587C: BF0A4252
	s_cselect_b32 s20, s36, s60                                // 000000005880: 85143C24
	v_readlane_b32 s82, v3, 7                                  // 000000005884: D2890052 00010F03
	s_and_b32 s82, s82, 0xffffff                               // 00000000588C: 8652FF52 00FFFFFF
	s_cmp_lt_u32 s82, s66                                      // 000000005894: BF0A4252
	s_cselect_b32 s21, s36, s60                                // 000000005898: 85153C24
	s_mov_b64 exec, s[20:21]                                   // 00000000589C: BEFE0114
	global_atomic_add_f32 v6, v77, s[8:9]                      // 0000000058A0: DD348000 00084D06
	s_mov_b64 exec, s[36:37]                                   // 0000000058A8: BEFE0124
	v_mov_b32_e32 v6, v50                                      // 0000000058AC: 7E0C0332
	s_mov_b64 s[60:61], 0                                      // 0000000058B0: BEBC0180
	v_readlane_b32 s82, v3, 8                                  // 0000000058B4: D2890052 00011103
	s_and_b32 s82, s82, 0xffffff                               // 0000000058BC: 8652FF52 00FFFFFF
	s_cmp_lt_u32 s82, s66                                      // 0000000058C4: BF0A4252
	s_cselect_b32 s20, s36, s60                                // 0000000058C8: 85143C24
	v_readlane_b32 s82, v3, 9                                  // 0000000058CC: D2890052 00011303
	s_and_b32 s82, s82, 0xffffff                               // 0000000058D4: 8652FF52 00FFFFFF
	s_cmp_lt_u32 s82, s66                                      // 0000000058DC: BF0A4252
	s_cselect_b32 s21, s36, s60                                // 0000000058E0: 85153C24
	s_mov_b64 exec, s[20:21]                                   // 0000000058E4: BEFE0114
	global_atomic_add_f32 v6, v80, s[8:9]                      // 0000000058E8: DD348000 00085006
	s_mov_b64 exec, s[36:37]                                   // 0000000058F0: BEFE0124
	v_mov_b32_e32 v6, v51                                      // 0000000058F4: 7E0C0333
	s_mov_b64 s[60:61], 0                                      // 0000000058F8: BEBC0180
	v_readlane_b32 s82, v3, 10                                 // 0000000058FC: D2890052 00011503
	s_and_b32 s82, s82, 0xffffff                               // 000000005904: 8652FF52 00FFFFFF
	s_cmp_lt_u32 s82, s66                                      // 00000000590C: BF0A4252
	s_cselect_b32 s20, s36, s60                                // 000000005910: 85143C24
	v_readlane_b32 s82, v3, 11                                 // 000000005914: D2890052 00011703
	s_and_b32 s82, s82, 0xffffff                               // 00000000591C: 8652FF52 00FFFFFF
	s_cmp_lt_u32 s82, s66                                      // 000000005924: BF0A4252
	s_cselect_b32 s21, s36, s60                                // 000000005928: 85153C24
	s_mov_b64 exec, s[20:21]                                   // 00000000592C: BEFE0114
	global_atomic_add_f32 v6, v81, s[8:9]                      // 000000005930: DD348000 00085106
	s_mov_b64 exec, s[36:37]                                   // 000000005938: BEFE0124
	v_mov_b32_e32 v6, v52                                      // 00000000593C: 7E0C0334
	s_mov_b64 s[60:61], 0                                      // 000000005940: BEBC0180
	v_readlane_b32 s82, v3, 12                                 // 000000005944: D2890052 00011903
	s_and_b32 s82, s82, 0xffffff                               // 00000000594C: 8652FF52 00FFFFFF
	s_cmp_lt_u32 s82, s66                                      // 000000005954: BF0A4252
	s_cselect_b32 s20, s36, s60                                // 000000005958: 85143C24
	v_readlane_b32 s82, v3, 13                                 // 00000000595C: D2890052 00011B03
	s_and_b32 s82, s82, 0xffffff                               // 000000005964: 8652FF52 00FFFFFF
	s_cmp_lt_u32 s82, s66                                      // 00000000596C: BF0A4252
	s_cselect_b32 s21, s36, s60                                // 000000005970: 85153C24
	s_mov_b64 exec, s[20:21]                                   // 000000005974: BEFE0114
	global_atomic_add_f32 v6, v84, s[8:9]                      // 000000005978: DD348000 00085406
	s_mov_b64 exec, s[36:37]                                   // 000000005980: BEFE0124
	v_mov_b32_e32 v6, v53                                      // 000000005984: 7E0C0335
	s_mov_b64 s[60:61], 0                                      // 000000005988: BEBC0180
	v_readlane_b32 s82, v3, 14                                 // 00000000598C: D2890052 00011D03
	s_and_b32 s82, s82, 0xffffff                               // 000000005994: 8652FF52 00FFFFFF
	s_cmp_lt_u32 s82, s66                                      // 00000000599C: BF0A4252
	s_cselect_b32 s20, s36, s60                                // 0000000059A0: 85143C24
	v_readlane_b32 s82, v3, 15                                 // 0000000059A4: D2890052 00011F03
	s_and_b32 s82, s82, 0xffffff                               // 0000000059AC: 8652FF52 00FFFFFF
	s_cmp_lt_u32 s82, s66                                      // 0000000059B4: BF0A4252
	s_cselect_b32 s21, s36, s60                                // 0000000059B8: 85153C24
	s_mov_b64 exec, s[20:21]                                   // 0000000059BC: BEFE0114
	global_atomic_add_f32 v6, v85, s[8:9]                      // 0000000059C0: DD348000 00085506
	s_mov_b64 exec, s[36:37]                                   // 0000000059C8: BEFE0124
	ds_write_b64 v20, v[74:75]                                 // 0000000059CC: D89A0000 00004A14
	ds_write_b64 v20, v[78:79] offset:2176                     // 0000000059D4: D89A0880 00004E14
	ds_write_b64 v20, v[82:83] offset:4352                     // 0000000059DC: D89A1100 00005214
	ds_write_b64 v20, v[86:87] offset:6528                     // 0000000059E4: D89A1980 00005614
	s_waitcnt lgkmcnt(0)                                       // 0000000059EC: BF8CC07F
	s_barrier                                                  // 0000000059F0: BF8A0000
	ds_read_b32 v74, v21                                       // 0000000059F4: D86C0000 4A000015
	ds_read_b32 v75, v21 offset:64                             // 0000000059FC: D86C0040 4B000015
	ds_read_b32 v78, v21 offset:2176                           // 000000005A04: D86C0880 4E000015
	ds_read_b32 v79, v21 offset:2240                           // 000000005A0C: D86C08C0 4F000015
	ds_read_b32 v82, v21 offset:4352                           // 000000005A14: D86C1100 52000015
	ds_read_b32 v83, v21 offset:4416                           // 000000005A1C: D86C1140 53000015
	ds_read_b32 v86, v21 offset:6528                           // 000000005A24: D86C1980 56000015
	ds_read_b32 v87, v21 offset:6592                           // 000000005A2C: D86C19C0 57000015
	s_waitcnt lgkmcnt(0)                                       // 000000005A34: BF8CC07F
	v_mov_b32_e32 v7, 0                                        // 000000005A38: 7E0E0280
	s_mov_b64 exec, s[36:37]                                   // 000000005A3C: BEFE0124
	v_mov_b32_e32 v6, v46                                      // 000000005A40: 7E0C032E
	s_mov_b64 s[60:61], 0                                      // 000000005A44: BEBC0180
	v_readlane_b32 s82, v3, 0                                  // 000000005A48: D2890052 00010103
	s_and_b32 s82, s82, 0xffffff                               // 000000005A50: 8652FF52 00FFFFFF
	s_cmp_lt_u32 s82, s66                                      // 000000005A58: BF0A4252
	s_cselect_b32 s20, s36, s60                                // 000000005A5C: 85143C24
	v_readlane_b32 s82, v3, 1                                  // 000000005A60: D2890052 00010303
	s_and_b32 s82, s82, 0xffffff                               // 000000005A68: 8652FF52 00FFFFFF
	s_cmp_lt_u32 s82, s66                                      // 000000005A70: BF0A4252
	s_cselect_b32 s21, s36, s60                                // 000000005A74: 85153C24
	s_mov_b64 exec, s[20:21]                                   // 000000005A78: BEFE0114
	global_atomic_add_f32 v6, v74, s[8:9] offset:8             // 000000005A7C: DD348008 00084A06
	s_mov_b64 exec, s[36:37]                                   // 000000005A84: BEFE0124
	v_mov_b32_e32 v6, v47                                      // 000000005A88: 7E0C032F
	s_mov_b64 s[60:61], 0                                      // 000000005A8C: BEBC0180
	v_readlane_b32 s82, v3, 2                                  // 000000005A90: D2890052 00010503
	s_and_b32 s82, s82, 0xffffff                               // 000000005A98: 8652FF52 00FFFFFF
	s_cmp_lt_u32 s82, s66                                      // 000000005AA0: BF0A4252
	s_cselect_b32 s20, s36, s60                                // 000000005AA4: 85143C24
	v_readlane_b32 s82, v3, 3                                  // 000000005AA8: D2890052 00010703
	s_and_b32 s82, s82, 0xffffff                               // 000000005AB0: 8652FF52 00FFFFFF
	s_cmp_lt_u32 s82, s66                                      // 000000005AB8: BF0A4252
	s_cselect_b32 s21, s36, s60                                // 000000005ABC: 85153C24
	s_mov_b64 exec, s[20:21]                                   // 000000005AC0: BEFE0114
	global_atomic_add_f32 v6, v75, s[8:9] offset:8             // 000000005AC4: DD348008 00084B06
	s_mov_b64 exec, s[36:37]                                   // 000000005ACC: BEFE0124
	v_mov_b32_e32 v6, v48                                      // 000000005AD0: 7E0C0330
	s_mov_b64 s[60:61], 0                                      // 000000005AD4: BEBC0180
	v_readlane_b32 s82, v3, 4                                  // 000000005AD8: D2890052 00010903
	s_and_b32 s82, s82, 0xffffff                               // 000000005AE0: 8652FF52 00FFFFFF
	s_cmp_lt_u32 s82, s66                                      // 000000005AE8: BF0A4252
	s_cselect_b32 s20, s36, s60                                // 000000005AEC: 85143C24
	v_readlane_b32 s82, v3, 5                                  // 000000005AF0: D2890052 00010B03
	s_and_b32 s82, s82, 0xffffff                               // 000000005AF8: 8652FF52 00FFFFFF
	s_cmp_lt_u32 s82, s66                                      // 000000005B00: BF0A4252
	s_cselect_b32 s21, s36, s60                                // 000000005B04: 85153C24
	s_mov_b64 exec, s[20:21]                                   // 000000005B08: BEFE0114
	global_atomic_add_f32 v6, v78, s[8:9] offset:8             // 000000005B0C: DD348008 00084E06
	s_mov_b64 exec, s[36:37]                                   // 000000005B14: BEFE0124
	v_mov_b32_e32 v6, v49                                      // 000000005B18: 7E0C0331
	s_mov_b64 s[60:61], 0                                      // 000000005B1C: BEBC0180
	v_readlane_b32 s82, v3, 6                                  // 000000005B20: D2890052 00010D03
	s_and_b32 s82, s82, 0xffffff                               // 000000005B28: 8652FF52 00FFFFFF
	s_cmp_lt_u32 s82, s66                                      // 000000005B30: BF0A4252
	s_cselect_b32 s20, s36, s60                                // 000000005B34: 85143C24
	v_readlane_b32 s82, v3, 7                                  // 000000005B38: D2890052 00010F03
	s_and_b32 s82, s82, 0xffffff                               // 000000005B40: 8652FF52 00FFFFFF
	s_cmp_lt_u32 s82, s66                                      // 000000005B48: BF0A4252
	s_cselect_b32 s21, s36, s60                                // 000000005B4C: 85153C24
	s_mov_b64 exec, s[20:21]                                   // 000000005B50: BEFE0114
	global_atomic_add_f32 v6, v79, s[8:9] offset:8             // 000000005B54: DD348008 00084F06
	s_mov_b64 exec, s[36:37]                                   // 000000005B5C: BEFE0124
	v_mov_b32_e32 v6, v50                                      // 000000005B60: 7E0C0332
	s_mov_b64 s[60:61], 0                                      // 000000005B64: BEBC0180
	v_readlane_b32 s82, v3, 8                                  // 000000005B68: D2890052 00011103
	s_and_b32 s82, s82, 0xffffff                               // 000000005B70: 8652FF52 00FFFFFF
	s_cmp_lt_u32 s82, s66                                      // 000000005B78: BF0A4252
	s_cselect_b32 s20, s36, s60                                // 000000005B7C: 85143C24
	v_readlane_b32 s82, v3, 9                                  // 000000005B80: D2890052 00011303
	s_and_b32 s82, s82, 0xffffff                               // 000000005B88: 8652FF52 00FFFFFF
	s_cmp_lt_u32 s82, s66                                      // 000000005B90: BF0A4252
	s_cselect_b32 s21, s36, s60                                // 000000005B94: 85153C24
	s_mov_b64 exec, s[20:21]                                   // 000000005B98: BEFE0114
	global_atomic_add_f32 v6, v82, s[8:9] offset:8             // 000000005B9C: DD348008 00085206
	s_mov_b64 exec, s[36:37]                                   // 000000005BA4: BEFE0124
	v_mov_b32_e32 v6, v51                                      // 000000005BA8: 7E0C0333
	s_mov_b64 s[60:61], 0                                      // 000000005BAC: BEBC0180
	v_readlane_b32 s82, v3, 10                                 // 000000005BB0: D2890052 00011503
	s_and_b32 s82, s82, 0xffffff                               // 000000005BB8: 8652FF52 00FFFFFF
	s_cmp_lt_u32 s82, s66                                      // 000000005BC0: BF0A4252
	s_cselect_b32 s20, s36, s60                                // 000000005BC4: 85143C24
	v_readlane_b32 s82, v3, 11                                 // 000000005BC8: D2890052 00011703
	s_and_b32 s82, s82, 0xffffff                               // 000000005BD0: 8652FF52 00FFFFFF
	s_cmp_lt_u32 s82, s66                                      // 000000005BD8: BF0A4252
	s_cselect_b32 s21, s36, s60                                // 000000005BDC: 85153C24
	s_mov_b64 exec, s[20:21]                                   // 000000005BE0: BEFE0114
	global_atomic_add_f32 v6, v83, s[8:9] offset:8             // 000000005BE4: DD348008 00085306
	s_mov_b64 exec, s[36:37]                                   // 000000005BEC: BEFE0124
	v_mov_b32_e32 v6, v52                                      // 000000005BF0: 7E0C0334
	s_mov_b64 s[60:61], 0                                      // 000000005BF4: BEBC0180
	v_readlane_b32 s82, v3, 12                                 // 000000005BF8: D2890052 00011903
	s_and_b32 s82, s82, 0xffffff                               // 000000005C00: 8652FF52 00FFFFFF
	s_cmp_lt_u32 s82, s66                                      // 000000005C08: BF0A4252
	s_cselect_b32 s20, s36, s60                                // 000000005C0C: 85143C24
	v_readlane_b32 s82, v3, 13                                 // 000000005C10: D2890052 00011B03
	s_and_b32 s82, s82, 0xffffff                               // 000000005C18: 8652FF52 00FFFFFF
	s_cmp_lt_u32 s82, s66                                      // 000000005C20: BF0A4252
	s_cselect_b32 s21, s36, s60                                // 000000005C24: 85153C24
	s_mov_b64 exec, s[20:21]                                   // 000000005C28: BEFE0114
	global_atomic_add_f32 v6, v86, s[8:9] offset:8             // 000000005C2C: DD348008 00085606
	s_mov_b64 exec, s[36:37]                                   // 000000005C34: BEFE0124
	v_mov_b32_e32 v6, v53                                      // 000000005C38: 7E0C0335
	s_mov_b64 s[60:61], 0                                      // 000000005C3C: BEBC0180
	v_readlane_b32 s82, v3, 14                                 // 000000005C40: D2890052 00011D03
	s_and_b32 s82, s82, 0xffffff                               // 000000005C48: 8652FF52 00FFFFFF
	s_cmp_lt_u32 s82, s66                                      // 000000005C50: BF0A4252
	s_cselect_b32 s20, s36, s60                                // 000000005C54: 85143C24
	v_readlane_b32 s82, v3, 15                                 // 000000005C58: D2890052 00011F03
	s_and_b32 s82, s82, 0xffffff                               // 000000005C60: 8652FF52 00FFFFFF
	s_cmp_lt_u32 s82, s66                                      // 000000005C68: BF0A4252
	s_cselect_b32 s21, s36, s60                                // 000000005C6C: 85153C24
	s_mov_b64 exec, s[20:21]                                   // 000000005C70: BEFE0114
	global_atomic_add_f32 v6, v87, s[8:9] offset:8             // 000000005C74: DD348008 00085706
	s_mov_b64 exec, s[36:37]                                   // 000000005C7C: BEFE0124
	s_branch label_16F0                                        // 000000005C80: BF820A4C

0000000000005c84 <label_0CA4>:
	s_waitcnt vmcnt(10) lgkmcnt(0)                             // 000000005C84: BF8C007A
	v_mfma_f32_16x16x32_fp8_fp8 v[56:59], a[64:65], a[0:1], v[56:59]// 000000005C88: D3F30038 1CE20140
	buffer_load_dwordx4 a[80:83], v54, s[24:27], 0 offen       // 000000005C90: E05C1000 80865036
	v_mfma_f32_16x16x32_fp8_fp8 v[56:59], a[66:67], a[2:3], v[56:59]// 000000005C98: D3F30038 1CE20542
	v_mfma_f32_16x16x32_fp8_fp8 v[56:59], a[68:69], a[4:5], v[56:59]// 000000005CA0: D3F30038 1CE20944
	v_mfma_f32_16x16x32_fp8_fp8 v[56:59], a[70:71], a[6:7], v[56:59]// 000000005CA8: D3F30038 1CE20D46
	v_mfma_f32_16x16x32_fp8_fp8 v[60:63], a[64:65], a[8:9], v[60:63]// 000000005CB0: D3F3003C 1CF21140
	buffer_load_dwordx4 a[84:87], v54, s[24:27], 0 offen offset:1024// 000000005CB8: E05C1400 80865436
	buffer_load_dword v46, s[20:23], 0 offen lds               // 000000005CC0: E0511000 8005002E
	s_add_u32 m0, 0x100, s50                                   // 000000005CC8: 807C32FF 00000100
	v_mfma_f32_16x16x32_fp8_fp8 v[60:63], a[66:67], a[10:11], v[60:63]// 000000005CD0: D3F3003C 1CF21542
	v_mfma_f32_16x16x32_fp8_fp8 v[60:63], a[68:69], a[12:13], v[60:63]// 000000005CD8: D3F3003C 1CF21944
	buffer_load_dword v47, s[20:23], 0 offen lds               // 000000005CE0: E0511000 8005002F
	s_add_u32 m0, 0x200, s50                                   // 000000005CE8: 807C32FF 00000200
	v_mfma_f32_16x16x32_fp8_fp8 v[60:63], a[70:71], a[14:15], v[60:63]// 000000005CF0: D3F3003C 1CF21D46
	v_mfma_f32_16x16x32_fp8_fp8 v[64:67], a[64:65], a[16:17], v[64:67]// 000000005CF8: D3F30040 1D022140
	buffer_load_dword v48, s[20:23], 0 offen lds               // 000000005D00: E0511000 80050030
	s_add_u32 m0, 0x300, s50                                   // 000000005D08: 807C32FF 00000300
	v_mfma_f32_16x16x32_fp8_fp8 v[64:67], a[66:67], a[18:19], v[64:67]// 000000005D10: D3F30040 1D022542
	v_mfma_f32_16x16x32_fp8_fp8 v[64:67], a[68:69], a[20:21], v[64:67]// 000000005D18: D3F30040 1D022944
	buffer_load_dword v49, s[20:23], 0 offen lds               // 000000005D20: E0511000 80050031
	s_add_u32 m0, 0x400, s50                                   // 000000005D28: 807C32FF 00000400
	v_mfma_f32_16x16x32_fp8_fp8 v[64:67], a[70:71], a[22:23], v[64:67]// 000000005D30: D3F30040 1D022D46
	v_mfma_f32_16x16x32_fp8_fp8 v[68:71], a[64:65], a[24:25], v[68:71]// 000000005D38: D3F30044 1D123140
	buffer_load_dword v50, s[20:23], 0 offen lds               // 000000005D40: E0511000 80050032
	s_add_u32 m0, 0x500, s50                                   // 000000005D48: 807C32FF 00000500
	v_mfma_f32_16x16x32_fp8_fp8 v[68:71], a[66:67], a[26:27], v[68:71]// 000000005D50: D3F30044 1D123542
	v_mfma_f32_16x16x32_fp8_fp8 v[68:71], a[68:69], a[28:29], v[68:71]// 000000005D58: D3F30044 1D123944
	buffer_load_dword v51, s[20:23], 0 offen lds               // 000000005D60: E0511000 80050033
	s_add_u32 m0, 0x600, s50                                   // 000000005D68: 807C32FF 00000600
	v_mfma_f32_16x16x32_fp8_fp8 v[68:71], a[70:71], a[30:31], v[68:71]// 000000005D70: D3F30044 1D123D46
	buffer_load_dword v52, s[20:23], 0 offen lds               // 000000005D78: E0511000 80050034
	s_add_u32 m0, 0x700, s50                                   // 000000005D80: 807C32FF 00000700
	buffer_load_dword v53, s[20:23], 0 offen lds               // 000000005D88: E0511000 80050035
	s_add_u32 m0, 0, s48                                       // 000000005D90: 807C3080
	s_waitcnt vmcnt(10)                                        // 000000005D94: BF8C0F7A
	s_barrier                                                  // 000000005D98: BF8A0000
	v_mfma_f32_16x16x32_fp8_fp8 v[72:75], a[72:73], a[0:1], v[72:75]// 000000005D9C: D3F30048 1D220148
	buffer_load_dwordx4 a[64:67], v54, s[84:87], 0 offen       // 000000005DA4: E05C1000 80954036
	v_mfma_f32_16x16x32_fp8_fp8 v[72:75], a[74:75], a[2:3], v[72:75]// 000000005DAC: D3F30048 1D22054A
	v_mfma_f32_16x16x32_fp8_fp8 v[72:75], a[76:77], a[4:5], v[72:75]// 000000005DB4: D3F30048 1D22094C
	ds_read_b128 a[32:35], v2 offset:8320                      // 000000005DBC: DBFE2080 20000002
	ds_read_b128 a[36:39], v2 offset:8384                      // 000000005DC4: DBFE20C0 24000002
	v_mfma_f32_16x16x32_fp8_fp8 v[72:75], a[78:79], a[6:7], v[72:75]// 000000005DCC: D3F30048 1D220D4E
	v_mfma_f32_16x16x32_fp8_fp8 v[76:79], a[72:73], a[8:9], v[76:79]// 000000005DD4: D3F3004C 1D321148
	buffer_load_dwordx4 a[68:71], v54, s[84:87], 0 offen offset:1024// 000000005DDC: E05C1400 80954436
	v_mfma_f32_16x16x32_fp8_fp8 v[76:79], a[74:75], a[10:11], v[76:79]// 000000005DE4: D3F3004C 1D32154A
	v_mfma_f32_16x16x32_fp8_fp8 v[76:79], a[76:77], a[12:13], v[76:79]// 000000005DEC: D3F3004C 1D32194C
	ds_read_b128 a[40:43], v2 offset:8832                      // 000000005DF4: DBFE2280 28000002
	ds_read_b128 a[44:47], v2 offset:8896                      // 000000005DFC: DBFE22C0 2C000002
	v_mfma_f32_16x16x32_fp8_fp8 v[76:79], a[78:79], a[14:15], v[76:79]// 000000005E04: D3F3004C 1D321D4E
	v_mfma_f32_16x16x32_fp8_fp8 v[80:83], a[72:73], a[16:17], v[80:83]// 000000005E0C: D3F30050 1D422148
	s_add_u32 s60, 0x180, s80                                  // 000000005E14: 803C50FF 00000180
	s_cmp_lt_u32 s60, s81                                      // 000000005E1C: BF0A513C
	s_cselect_b32 s57, s57, 0                                  // 000000005E20: 85398039
	v_mfma_f32_16x16x32_fp8_fp8 v[80:83], a[74:75], a[18:19], v[80:83]// 000000005E24: D3F30050 1D42254A
	s_add_u32 s60, 0x100, s80                                  // 000000005E2C: 803C50FF 00000100
	s_cmp_lt_u32 s60, s81                                      // 000000005E34: BF0A513C
	s_cselect_b32 s58, s58, 0                                  // 000000005E38: 853A803A
	v_mfma_f32_16x16x32_fp8_fp8 v[80:83], a[76:77], a[20:21], v[80:83]// 000000005E3C: D3F30050 1D42294C
	ds_read_b128 a[48:51], v2 offset:9344                      // 000000005E44: DBFE2480 30000002
	ds_read_b128 a[52:55], v2 offset:9408                      // 000000005E4C: DBFE24C0 34000002
	s_add_u32 s60, 0x100, s80                                  // 000000005E54: 803C50FF 00000100
	s_cmp_lt_u32 s60, s81                                      // 000000005E5C: BF0A513C
	s_cselect_b32 s83, s83, 0                                  // 000000005E60: 85538053
	v_mfma_f32_16x16x32_fp8_fp8 v[80:83], a[78:79], a[22:23], v[80:83]// 000000005E64: D3F30050 1D422D4E
	s_add_u32 s24, s58, s24                                    // 000000005E6C: 8018183A
	s_addc_u32 s25, 0, s25                                     // 000000005E70: 82191980
	v_mfma_f32_16x16x32_fp8_fp8 v[84:87], a[72:73], a[24:25], v[84:87]// 000000005E74: D3F30054 1D523148
	s_add_u32 s20, s57, s20                                    // 000000005E7C: 80141439
	s_addc_u32 s21, 0, s21                                     // 000000005E80: 82151580
	v_mfma_f32_16x16x32_fp8_fp8 v[84:87], a[74:75], a[26:27], v[84:87]// 000000005E84: D3F30054 1D52354A
	s_add_u32 s84, s83, s84                                    // 000000005E8C: 80545453
	s_addc_u32 s85, 0, s85                                     // 000000005E90: 82555580
	v_mfma_f32_16x16x32_fp8_fp8 v[84:87], a[76:77], a[28:29], v[84:87]// 000000005E94: D3F30054 1D52394C
	ds_read_b128 a[56:59], v2 offset:9856                      // 000000005E9C: DBFE2680 38000002
	ds_read_b128 a[60:63], v2 offset:9920                      // 000000005EA4: DBFE26C0 3C000002
	v_mfma_f32_16x16x32_fp8_fp8 v[84:87], a[78:79], a[30:31], v[84:87]// 000000005EAC: D3F30054 1D523D4E
	s_addk_i32 s80, 0x80                                       // 000000005EB4: B7500080
	s_cmp_lt_i32 s80, s81                                      // 000000005EB8: BF045150
	s_cbranch_scc0 label_0FFF                                  // 000000005EBC: BF8402CC
	s_waitcnt vmcnt(10) lgkmcnt(0)                             // 000000005EC0: BF8C007A
	v_mfma_f32_16x16x32_fp8_fp8 v[56:59], a[80:81], a[32:33], v[56:59]// 000000005EC4: D3F30038 1CE24150
	buffer_load_dwordx4 a[72:75], v54, s[24:27], 0 offen       // 000000005ECC: E05C1000 80864836
	v_mfma_f32_16x16x32_fp8_fp8 v[56:59], a[82:83], a[34:35], v[56:59]// 000000005ED4: D3F30038 1CE24552
	v_mfma_f32_16x16x32_fp8_fp8 v[56:59], a[84:85], a[36:37], v[56:59]// 000000005EDC: D3F30038 1CE24954
	v_mfma_f32_16x16x32_fp8_fp8 v[56:59], a[86:87], a[38:39], v[56:59]// 000000005EE4: D3F30038 1CE24D56
	v_mfma_f32_16x16x32_fp8_fp8 v[60:63], a[80:81], a[40:41], v[60:63]// 000000005EEC: D3F3003C 1CF25150
	buffer_load_dwordx4 a[76:79], v54, s[24:27], 0 offen offset:1024// 000000005EF4: E05C1400 80864C36
	buffer_load_dword v46, s[20:23], 0 offen lds               // 000000005EFC: E0511000 8005002E
	s_add_u32 m0, 0x100, s48                                   // 000000005F04: 807C30FF 00000100
	v_mfma_f32_16x16x32_fp8_fp8 v[60:63], a[82:83], a[42:43], v[60:63]// 000000005F0C: D3F3003C 1CF25552
	v_mfma_f32_16x16x32_fp8_fp8 v[60:63], a[84:85], a[44:45], v[60:63]// 000000005F14: D3F3003C 1CF25954
	buffer_load_dword v47, s[20:23], 0 offen lds               // 000000005F1C: E0511000 8005002F
	s_add_u32 m0, 0x200, s48                                   // 000000005F24: 807C30FF 00000200
	v_mfma_f32_16x16x32_fp8_fp8 v[60:63], a[86:87], a[46:47], v[60:63]// 000000005F2C: D3F3003C 1CF25D56
	v_mfma_f32_16x16x32_fp8_fp8 v[64:67], a[80:81], a[48:49], v[64:67]// 000000005F34: D3F30040 1D026150
	buffer_load_dword v48, s[20:23], 0 offen lds               // 000000005F3C: E0511000 80050030
	s_add_u32 m0, 0x300, s48                                   // 000000005F44: 807C30FF 00000300
	v_mfma_f32_16x16x32_fp8_fp8 v[64:67], a[82:83], a[50:51], v[64:67]// 000000005F4C: D3F30040 1D026552
	v_mfma_f32_16x16x32_fp8_fp8 v[64:67], a[84:85], a[52:53], v[64:67]// 000000005F54: D3F30040 1D026954
	buffer_load_dword v49, s[20:23], 0 offen lds               // 000000005F5C: E0511000 80050031
	s_add_u32 m0, 0x400, s48                                   // 000000005F64: 807C30FF 00000400
	v_mfma_f32_16x16x32_fp8_fp8 v[64:67], a[86:87], a[54:55], v[64:67]// 000000005F6C: D3F30040 1D026D56
	v_mfma_f32_16x16x32_fp8_fp8 v[68:71], a[80:81], a[56:57], v[68:71]// 000000005F74: D3F30044 1D127150
	buffer_load_dword v50, s[20:23], 0 offen lds               // 000000005F7C: E0511000 80050032
	s_add_u32 m0, 0x500, s48                                   // 000000005F84: 807C30FF 00000500
	v_mfma_f32_16x16x32_fp8_fp8 v[68:71], a[82:83], a[58:59], v[68:71]// 000000005F8C: D3F30044 1D127552
	v_mfma_f32_16x16x32_fp8_fp8 v[68:71], a[84:85], a[60:61], v[68:71]// 000000005F94: D3F30044 1D127954
	buffer_load_dword v51, s[20:23], 0 offen lds               // 000000005F9C: E0511000 80050033
	s_add_u32 m0, 0x600, s48                                   // 000000005FA4: 807C30FF 00000600
	v_mfma_f32_16x16x32_fp8_fp8 v[68:71], a[86:87], a[62:63], v[68:71]// 000000005FAC: D3F30044 1D127D56
	buffer_load_dword v52, s[20:23], 0 offen lds               // 000000005FB4: E0511000 80050034
	s_add_u32 m0, 0x700, s48                                   // 000000005FBC: 807C30FF 00000700
	buffer_load_dword v53, s[20:23], 0 offen lds               // 000000005FC4: E0511000 80050035
	s_add_u32 m0, 0, s49                                       // 000000005FCC: 807C3180
	s_waitcnt vmcnt(10)                                        // 000000005FD0: BF8C0F7A
	s_barrier                                                  // 000000005FD4: BF8A0000
	v_mfma_f32_16x16x32_fp8_fp8 v[72:75], a[64:65], a[32:33], v[72:75]// 000000005FD8: D3F30048 1D224140
	buffer_load_dwordx4 a[80:83], v54, s[84:87], 0 offen       // 000000005FE0: E05C1000 80955036
	v_mfma_f32_16x16x32_fp8_fp8 v[72:75], a[66:67], a[34:35], v[72:75]// 000000005FE8: D3F30048 1D224542
	v_mfma_f32_16x16x32_fp8_fp8 v[72:75], a[68:69], a[36:37], v[72:75]// 000000005FF0: D3F30048 1D224944
	ds_read_b128 a[0:3], v2 offset:16640                       // 000000005FF8: DBFE4100 00000002
	ds_read_b128 a[4:7], v2 offset:16704                       // 000000006000: DBFE4140 04000002
	v_mfma_f32_16x16x32_fp8_fp8 v[72:75], a[70:71], a[38:39], v[72:75]// 000000006008: D3F30048 1D224D46
	v_mfma_f32_16x16x32_fp8_fp8 v[76:79], a[64:65], a[40:41], v[76:79]// 000000006010: D3F3004C 1D325140
	buffer_load_dwordx4 a[84:87], v54, s[84:87], 0 offen offset:1024// 000000006018: E05C1400 80955436
	v_mfma_f32_16x16x32_fp8_fp8 v[76:79], a[66:67], a[42:43], v[76:79]// 000000006020: D3F3004C 1D325542
	v_mfma_f32_16x16x32_fp8_fp8 v[76:79], a[68:69], a[44:45], v[76:79]// 000000006028: D3F3004C 1D325944
	ds_read_b128 a[8:11], v2 offset:17152                      // 000000006030: DBFE4300 08000002
	ds_read_b128 a[12:15], v2 offset:17216                     // 000000006038: DBFE4340 0C000002
	v_mfma_f32_16x16x32_fp8_fp8 v[76:79], a[70:71], a[46:47], v[76:79]// 000000006040: D3F3004C 1D325D46
	v_mfma_f32_16x16x32_fp8_fp8 v[80:83], a[64:65], a[48:49], v[80:83]// 000000006048: D3F30050 1D426140
	s_add_u32 s60, 0x180, s80                                  // 000000006050: 803C50FF 00000180
	s_cmp_lt_u32 s60, s81                                      // 000000006058: BF0A513C
	s_cselect_b32 s57, s57, 0                                  // 00000000605C: 85398039
	v_mfma_f32_16x16x32_fp8_fp8 v[80:83], a[66:67], a[50:51], v[80:83]// 000000006060: D3F30050 1D426542
	s_add_u32 s60, 0x100, s80                                  // 000000006068: 803C50FF 00000100
	s_cmp_lt_u32 s60, s81                                      // 000000006070: BF0A513C
	s_cselect_b32 s58, s58, 0                                  // 000000006074: 853A803A
	v_mfma_f32_16x16x32_fp8_fp8 v[80:83], a[68:69], a[52:53], v[80:83]// 000000006078: D3F30050 1D426944
	ds_read_b128 a[16:19], v2 offset:17664                     // 000000006080: DBFE4500 10000002
	ds_read_b128 a[20:23], v2 offset:17728                     // 000000006088: DBFE4540 14000002
	s_add_u32 s60, 0x100, s80                                  // 000000006090: 803C50FF 00000100
	s_cmp_lt_u32 s60, s81                                      // 000000006098: BF0A513C
	s_cselect_b32 s83, s83, 0                                  // 00000000609C: 85538053
	v_mfma_f32_16x16x32_fp8_fp8 v[80:83], a[70:71], a[54:55], v[80:83]// 0000000060A0: D3F30050 1D426D46
	s_add_u32 s24, s58, s24                                    // 0000000060A8: 8018183A
	s_addc_u32 s25, 0, s25                                     // 0000000060AC: 82191980
	v_mfma_f32_16x16x32_fp8_fp8 v[84:87], a[64:65], a[56:57], v[84:87]// 0000000060B0: D3F30054 1D527140
	s_add_u32 s20, s57, s20                                    // 0000000060B8: 80141439
	s_addc_u32 s21, 0, s21                                     // 0000000060BC: 82151580
	v_mfma_f32_16x16x32_fp8_fp8 v[84:87], a[66:67], a[58:59], v[84:87]// 0000000060C0: D3F30054 1D527542
	s_add_u32 s84, s83, s84                                    // 0000000060C8: 80545453
	s_addc_u32 s85, 0, s85                                     // 0000000060CC: 82555580
	v_mfma_f32_16x16x32_fp8_fp8 v[84:87], a[68:69], a[60:61], v[84:87]// 0000000060D0: D3F30054 1D527944
	ds_read_b128 a[24:27], v2 offset:18176                     // 0000000060D8: DBFE4700 18000002
	ds_read_b128 a[28:31], v2 offset:18240                     // 0000000060E0: DBFE4740 1C000002
	v_mfma_f32_16x16x32_fp8_fp8 v[84:87], a[70:71], a[62:63], v[84:87]// 0000000060E8: D3F30054 1D527D46
	s_addk_i32 s80, 0x80                                       // 0000000060F0: B7500080
	s_cmp_lt_i32 s80, s81                                      // 0000000060F4: BF045150
	s_cbranch_scc0 label_0FFF                                  // 0000000060F8: BF84023D
	s_waitcnt vmcnt(10) lgkmcnt(0)                             // 0000000060FC: BF8C007A
	v_mfma_f32_16x16x32_fp8_fp8 v[56:59], a[72:73], a[0:1], v[56:59]// 000000006100: D3F30038 1CE20148
	buffer_load_dwordx4 a[64:67], v54, s[24:27], 0 offen       // 000000006108: E05C1000 80864036
	v_mfma_f32_16x16x32_fp8_fp8 v[56:59], a[74:75], a[2:3], v[56:59]// 000000006110: D3F30038 1CE2054A
	v_mfma_f32_16x16x32_fp8_fp8 v[56:59], a[76:77], a[4:5], v[56:59]// 000000006118: D3F30038 1CE2094C
	v_mfma_f32_16x16x32_fp8_fp8 v[56:59], a[78:79], a[6:7], v[56:59]// 000000006120: D3F30038 1CE20D4E
	v_mfma_f32_16x16x32_fp8_fp8 v[60:63], a[72:73], a[8:9], v[60:63]// 000000006128: D3F3003C 1CF21148
	buffer_load_dwordx4 a[68:71], v54, s[24:27], 0 offen offset:1024// 000000006130: E05C1400 80864436
	buffer_load_dword v46, s[20:23], 0 offen lds               // 000000006138: E0511000 8005002E
	s_add_u32 m0, 0x100, s49                                   // 000000006140: 807C31FF 00000100
	v_mfma_f32_16x16x32_fp8_fp8 v[60:63], a[74:75], a[10:11], v[60:63]// 000000006148: D3F3003C 1CF2154A
	v_mfma_f32_16x16x32_fp8_fp8 v[60:63], a[76:77], a[12:13], v[60:63]// 000000006150: D3F3003C 1CF2194C
	buffer_load_dword v47, s[20:23], 0 offen lds               // 000000006158: E0511000 8005002F
	s_add_u32 m0, 0x200, s49                                   // 000000006160: 807C31FF 00000200
	v_mfma_f32_16x16x32_fp8_fp8 v[60:63], a[78:79], a[14:15], v[60:63]// 000000006168: D3F3003C 1CF21D4E
	v_mfma_f32_16x16x32_fp8_fp8 v[64:67], a[72:73], a[16:17], v[64:67]// 000000006170: D3F30040 1D022148
	buffer_load_dword v48, s[20:23], 0 offen lds               // 000000006178: E0511000 80050030
	s_add_u32 m0, 0x300, s49                                   // 000000006180: 807C31FF 00000300
	v_mfma_f32_16x16x32_fp8_fp8 v[64:67], a[74:75], a[18:19], v[64:67]// 000000006188: D3F30040 1D02254A
	v_mfma_f32_16x16x32_fp8_fp8 v[64:67], a[76:77], a[20:21], v[64:67]// 000000006190: D3F30040 1D02294C
	buffer_load_dword v49, s[20:23], 0 offen lds               // 000000006198: E0511000 80050031
	s_add_u32 m0, 0x400, s49                                   // 0000000061A0: 807C31FF 00000400
	v_mfma_f32_16x16x32_fp8_fp8 v[64:67], a[78:79], a[22:23], v[64:67]// 0000000061A8: D3F30040 1D022D4E
	v_mfma_f32_16x16x32_fp8_fp8 v[68:71], a[72:73], a[24:25], v[68:71]// 0000000061B0: D3F30044 1D123148
	buffer_load_dword v50, s[20:23], 0 offen lds               // 0000000061B8: E0511000 80050032
	s_add_u32 m0, 0x500, s49                                   // 0000000061C0: 807C31FF 00000500
	v_mfma_f32_16x16x32_fp8_fp8 v[68:71], a[74:75], a[26:27], v[68:71]// 0000000061C8: D3F30044 1D12354A
	v_mfma_f32_16x16x32_fp8_fp8 v[68:71], a[76:77], a[28:29], v[68:71]// 0000000061D0: D3F30044 1D12394C
	buffer_load_dword v51, s[20:23], 0 offen lds               // 0000000061D8: E0511000 80050033
	s_add_u32 m0, 0x600, s49                                   // 0000000061E0: 807C31FF 00000600
	v_mfma_f32_16x16x32_fp8_fp8 v[68:71], a[78:79], a[30:31], v[68:71]// 0000000061E8: D3F30044 1D123D4E
	buffer_load_dword v52, s[20:23], 0 offen lds               // 0000000061F0: E0511000 80050034
	s_add_u32 m0, 0x700, s49                                   // 0000000061F8: 807C31FF 00000700
	buffer_load_dword v53, s[20:23], 0 offen lds               // 000000006200: E0511000 80050035
	s_add_u32 m0, 0, s50                                       // 000000006208: 807C3280
	s_waitcnt vmcnt(10)                                        // 00000000620C: BF8C0F7A
	s_barrier                                                  // 000000006210: BF8A0000
	v_mfma_f32_16x16x32_fp8_fp8 v[72:75], a[80:81], a[0:1], v[72:75]// 000000006214: D3F30048 1D220150
	buffer_load_dwordx4 a[72:75], v54, s[84:87], 0 offen       // 00000000621C: E05C1000 80954836
	v_mfma_f32_16x16x32_fp8_fp8 v[72:75], a[82:83], a[2:3], v[72:75]// 000000006224: D3F30048 1D220552
	v_mfma_f32_16x16x32_fp8_fp8 v[72:75], a[84:85], a[4:5], v[72:75]// 00000000622C: D3F30048 1D220954
	ds_read_b128 a[32:35], v2                                  // 000000006234: DBFE0000 20000002
	ds_read_b128 a[36:39], v2 offset:64                        // 00000000623C: DBFE0040 24000002
	v_mfma_f32_16x16x32_fp8_fp8 v[72:75], a[86:87], a[6:7], v[72:75]// 000000006244: D3F30048 1D220D56
	v_mfma_f32_16x16x32_fp8_fp8 v[76:79], a[80:81], a[8:9], v[76:79]// 00000000624C: D3F3004C 1D321150
	buffer_load_dwordx4 a[76:79], v54, s[84:87], 0 offen offset:1024// 000000006254: E05C1400 80954C36
	v_mfma_f32_16x16x32_fp8_fp8 v[76:79], a[82:83], a[10:11], v[76:79]// 00000000625C: D3F3004C 1D321552
	v_mfma_f32_16x16x32_fp8_fp8 v[76:79], a[84:85], a[12:13], v[76:79]// 000000006264: D3F3004C 1D321954
	ds_read_b128 a[40:43], v2 offset:512                       // 00000000626C: DBFE0200 28000002
	ds_read_b128 a[44:47], v2 offset:576                       // 000000006274: DBFE0240 2C000002
	v_mfma_f32_16x16x32_fp8_fp8 v[76:79], a[86:87], a[14:15], v[76:79]// 00000000627C: D3F3004C 1D321D56
	v_mfma_f32_16x16x32_fp8_fp8 v[80:83], a[80:81], a[16:17], v[80:83]// 000000006284: D3F30050 1D422150
	s_add_u32 s60, 0x180, s80                                  // 00000000628C: 803C50FF 00000180
	s_cmp_lt_u32 s60, s81                                      // 000000006294: BF0A513C
	s_cselect_b32 s57, s57, 0                                  // 000000006298: 85398039
	v_mfma_f32_16x16x32_fp8_fp8 v[80:83], a[82:83], a[18:19], v[80:83]// 00000000629C: D3F30050 1D422552
	s_add_u32 s60, 0x100, s80                                  // 0000000062A4: 803C50FF 00000100
	s_cmp_lt_u32 s60, s81                                      // 0000000062AC: BF0A513C
	s_cselect_b32 s58, s58, 0                                  // 0000000062B0: 853A803A
	v_mfma_f32_16x16x32_fp8_fp8 v[80:83], a[84:85], a[20:21], v[80:83]// 0000000062B4: D3F30050 1D422954
	ds_read_b128 a[48:51], v2 offset:1024                      // 0000000062BC: DBFE0400 30000002
	ds_read_b128 a[52:55], v2 offset:1088                      // 0000000062C4: DBFE0440 34000002
	s_add_u32 s60, 0x100, s80                                  // 0000000062CC: 803C50FF 00000100
	s_cmp_lt_u32 s60, s81                                      // 0000000062D4: BF0A513C
	s_cselect_b32 s83, s83, 0                                  // 0000000062D8: 85538053
	v_mfma_f32_16x16x32_fp8_fp8 v[80:83], a[86:87], a[22:23], v[80:83]// 0000000062DC: D3F30050 1D422D56
	s_add_u32 s24, s58, s24                                    // 0000000062E4: 8018183A
	s_addc_u32 s25, 0, s25                                     // 0000000062E8: 82191980
	v_mfma_f32_16x16x32_fp8_fp8 v[84:87], a[80:81], a[24:25], v[84:87]// 0000000062EC: D3F30054 1D523150
	s_add_u32 s20, s57, s20                                    // 0000000062F4: 80141439
	s_addc_u32 s21, 0, s21                                     // 0000000062F8: 82151580
	v_mfma_f32_16x16x32_fp8_fp8 v[84:87], a[82:83], a[26:27], v[84:87]// 0000000062FC: D3F30054 1D523552
	s_add_u32 s84, s83, s84                                    // 000000006304: 80545453
	s_addc_u32 s85, 0, s85                                     // 000000006308: 82555580
	v_mfma_f32_16x16x32_fp8_fp8 v[84:87], a[84:85], a[28:29], v[84:87]// 00000000630C: D3F30054 1D523954
	ds_read_b128 a[56:59], v2 offset:1536                      // 000000006314: DBFE0600 38000002
	ds_read_b128 a[60:63], v2 offset:1600                      // 00000000631C: DBFE0640 3C000002
	v_mfma_f32_16x16x32_fp8_fp8 v[84:87], a[86:87], a[30:31], v[84:87]// 000000006324: D3F30054 1D523D56
	s_addk_i32 s80, 0x80                                       // 00000000632C: B7500080
	s_cmp_lt_i32 s80, s81                                      // 000000006330: BF045150
	s_cbranch_scc0 label_0FFF                                  // 000000006334: BF8401AE
	s_waitcnt vmcnt(10) lgkmcnt(0)                             // 000000006338: BF8C007A
	v_mfma_f32_16x16x32_fp8_fp8 v[56:59], a[64:65], a[32:33], v[56:59]// 00000000633C: D3F30038 1CE24140
	buffer_load_dwordx4 a[80:83], v54, s[24:27], 0 offen       // 000000006344: E05C1000 80865036
	v_mfma_f32_16x16x32_fp8_fp8 v[56:59], a[66:67], a[34:35], v[56:59]// 00000000634C: D3F30038 1CE24542
	v_mfma_f32_16x16x32_fp8_fp8 v[56:59], a[68:69], a[36:37], v[56:59]// 000000006354: D3F30038 1CE24944
	v_mfma_f32_16x16x32_fp8_fp8 v[56:59], a[70:71], a[38:39], v[56:59]// 00000000635C: D3F30038 1CE24D46
	v_mfma_f32_16x16x32_fp8_fp8 v[60:63], a[64:65], a[40:41], v[60:63]// 000000006364: D3F3003C 1CF25140
	buffer_load_dwordx4 a[84:87], v54, s[24:27], 0 offen offset:1024// 00000000636C: E05C1400 80865436
	buffer_load_dword v46, s[20:23], 0 offen lds               // 000000006374: E0511000 8005002E
	s_add_u32 m0, 0x100, s50                                   // 00000000637C: 807C32FF 00000100
	v_mfma_f32_16x16x32_fp8_fp8 v[60:63], a[66:67], a[42:43], v[60:63]// 000000006384: D3F3003C 1CF25542
	v_mfma_f32_16x16x32_fp8_fp8 v[60:63], a[68:69], a[44:45], v[60:63]// 00000000638C: D3F3003C 1CF25944
	buffer_load_dword v47, s[20:23], 0 offen lds               // 000000006394: E0511000 8005002F
	s_add_u32 m0, 0x200, s50                                   // 00000000639C: 807C32FF 00000200
	v_mfma_f32_16x16x32_fp8_fp8 v[60:63], a[70:71], a[46:47], v[60:63]// 0000000063A4: D3F3003C 1CF25D46
	v_mfma_f32_16x16x32_fp8_fp8 v[64:67], a[64:65], a[48:49], v[64:67]// 0000000063AC: D3F30040 1D026140
	buffer_load_dword v48, s[20:23], 0 offen lds               // 0000000063B4: E0511000 80050030
	s_add_u32 m0, 0x300, s50                                   // 0000000063BC: 807C32FF 00000300
	v_mfma_f32_16x16x32_fp8_fp8 v[64:67], a[66:67], a[50:51], v[64:67]// 0000000063C4: D3F30040 1D026542
	v_mfma_f32_16x16x32_fp8_fp8 v[64:67], a[68:69], a[52:53], v[64:67]// 0000000063CC: D3F30040 1D026944
	buffer_load_dword v49, s[20:23], 0 offen lds               // 0000000063D4: E0511000 80050031
	s_add_u32 m0, 0x400, s50                                   // 0000000063DC: 807C32FF 00000400
	v_mfma_f32_16x16x32_fp8_fp8 v[64:67], a[70:71], a[54:55], v[64:67]// 0000000063E4: D3F30040 1D026D46
	v_mfma_f32_16x16x32_fp8_fp8 v[68:71], a[64:65], a[56:57], v[68:71]// 0000000063EC: D3F30044 1D127140
	buffer_load_dword v50, s[20:23], 0 offen lds               // 0000000063F4: E0511000 80050032
	s_add_u32 m0, 0x500, s50                                   // 0000000063FC: 807C32FF 00000500
	v_mfma_f32_16x16x32_fp8_fp8 v[68:71], a[66:67], a[58:59], v[68:71]// 000000006404: D3F30044 1D127542
	v_mfma_f32_16x16x32_fp8_fp8 v[68:71], a[68:69], a[60:61], v[68:71]// 00000000640C: D3F30044 1D127944
	buffer_load_dword v51, s[20:23], 0 offen lds               // 000000006414: E0511000 80050033
	s_add_u32 m0, 0x600, s50                                   // 00000000641C: 807C32FF 00000600
	v_mfma_f32_16x16x32_fp8_fp8 v[68:71], a[70:71], a[62:63], v[68:71]// 000000006424: D3F30044 1D127D46
	buffer_load_dword v52, s[20:23], 0 offen lds               // 00000000642C: E0511000 80050034
	s_add_u32 m0, 0x700, s50                                   // 000000006434: 807C32FF 00000700
	buffer_load_dword v53, s[20:23], 0 offen lds               // 00000000643C: E0511000 80050035
	s_add_u32 m0, 0, s48                                       // 000000006444: 807C3080
	s_waitcnt vmcnt(10)                                        // 000000006448: BF8C0F7A
	s_barrier                                                  // 00000000644C: BF8A0000
	v_mfma_f32_16x16x32_fp8_fp8 v[72:75], a[72:73], a[32:33], v[72:75]// 000000006450: D3F30048 1D224148
	buffer_load_dwordx4 a[64:67], v54, s[84:87], 0 offen       // 000000006458: E05C1000 80954036
	v_mfma_f32_16x16x32_fp8_fp8 v[72:75], a[74:75], a[34:35], v[72:75]// 000000006460: D3F30048 1D22454A
	v_mfma_f32_16x16x32_fp8_fp8 v[72:75], a[76:77], a[36:37], v[72:75]// 000000006468: D3F30048 1D22494C
	ds_read_b128 a[0:3], v2 offset:8320                        // 000000006470: DBFE2080 00000002
	ds_read_b128 a[4:7], v2 offset:8384                        // 000000006478: DBFE20C0 04000002
	v_mfma_f32_16x16x32_fp8_fp8 v[72:75], a[78:79], a[38:39], v[72:75]// 000000006480: D3F30048 1D224D4E
	v_mfma_f32_16x16x32_fp8_fp8 v[76:79], a[72:73], a[40:41], v[76:79]// 000000006488: D3F3004C 1D325148
	buffer_load_dwordx4 a[68:71], v54, s[84:87], 0 offen offset:1024// 000000006490: E05C1400 80954436
	v_mfma_f32_16x16x32_fp8_fp8 v[76:79], a[74:75], a[42:43], v[76:79]// 000000006498: D3F3004C 1D32554A
	v_mfma_f32_16x16x32_fp8_fp8 v[76:79], a[76:77], a[44:45], v[76:79]// 0000000064A0: D3F3004C 1D32594C
	ds_read_b128 a[8:11], v2 offset:8832                       // 0000000064A8: DBFE2280 08000002
	ds_read_b128 a[12:15], v2 offset:8896                      // 0000000064B0: DBFE22C0 0C000002
	v_mfma_f32_16x16x32_fp8_fp8 v[76:79], a[78:79], a[46:47], v[76:79]// 0000000064B8: D3F3004C 1D325D4E
	v_mfma_f32_16x16x32_fp8_fp8 v[80:83], a[72:73], a[48:49], v[80:83]// 0000000064C0: D3F30050 1D426148
	s_add_u32 s60, 0x180, s80                                  // 0000000064C8: 803C50FF 00000180
	s_cmp_lt_u32 s60, s81                                      // 0000000064D0: BF0A513C
	s_cselect_b32 s57, s57, 0                                  // 0000000064D4: 85398039
	v_mfma_f32_16x16x32_fp8_fp8 v[80:83], a[74:75], a[50:51], v[80:83]// 0000000064D8: D3F30050 1D42654A
	s_add_u32 s60, 0x100, s80                                  // 0000000064E0: 803C50FF 00000100
	s_cmp_lt_u32 s60, s81                                      // 0000000064E8: BF0A513C
	s_cselect_b32 s58, s58, 0                                  // 0000000064EC: 853A803A
	v_mfma_f32_16x16x32_fp8_fp8 v[80:83], a[76:77], a[52:53], v[80:83]// 0000000064F0: D3F30050 1D42694C
	ds_read_b128 a[16:19], v2 offset:9344                      // 0000000064F8: DBFE2480 10000002
	ds_read_b128 a[20:23], v2 offset:9408                      // 000000006500: DBFE24C0 14000002
	s_add_u32 s60, 0x100, s80                                  // 000000006508: 803C50FF 00000100
	s_cmp_lt_u32 s60, s81                                      // 000000006510: BF0A513C
	s_cselect_b32 s83, s83, 0                                  // 000000006514: 85538053
	v_mfma_f32_16x16x32_fp8_fp8 v[80:83], a[78:79], a[54:55], v[80:83]// 000000006518: D3F30050 1D426D4E
	s_add_u32 s24, s58, s24                                    // 000000006520: 8018183A
	s_addc_u32 s25, 0, s25                                     // 000000006524: 82191980
	v_mfma_f32_16x16x32_fp8_fp8 v[84:87], a[72:73], a[56:57], v[84:87]// 000000006528: D3F30054 1D527148
	s_add_u32 s20, s57, s20                                    // 000000006530: 80141439
	s_addc_u32 s21, 0, s21                                     // 000000006534: 82151580
	v_mfma_f32_16x16x32_fp8_fp8 v[84:87], a[74:75], a[58:59], v[84:87]// 000000006538: D3F30054 1D52754A
	s_add_u32 s84, s83, s84                                    // 000000006540: 80545453
	s_addc_u32 s85, 0, s85                                     // 000000006544: 82555580
	v_mfma_f32_16x16x32_fp8_fp8 v[84:87], a[76:77], a[60:61], v[84:87]// 000000006548: D3F30054 1D52794C
	ds_read_b128 a[24:27], v2 offset:9856                      // 000000006550: DBFE2680 18000002
	ds_read_b128 a[28:31], v2 offset:9920                      // 000000006558: DBFE26C0 1C000002
	v_mfma_f32_16x16x32_fp8_fp8 v[84:87], a[78:79], a[62:63], v[84:87]// 000000006560: D3F30054 1D527D4E
	s_addk_i32 s80, 0x80                                       // 000000006568: B7500080
	s_cmp_lt_i32 s80, s81                                      // 00000000656C: BF045150
	s_cbranch_scc0 label_0FFF                                  // 000000006570: BF84011F
	s_waitcnt vmcnt(10) lgkmcnt(0)                             // 000000006574: BF8C007A
	v_mfma_f32_16x16x32_fp8_fp8 v[56:59], a[80:81], a[0:1], v[56:59]// 000000006578: D3F30038 1CE20150
	buffer_load_dwordx4 a[72:75], v54, s[24:27], 0 offen       // 000000006580: E05C1000 80864836
	v_mfma_f32_16x16x32_fp8_fp8 v[56:59], a[82:83], a[2:3], v[56:59]// 000000006588: D3F30038 1CE20552
	v_mfma_f32_16x16x32_fp8_fp8 v[56:59], a[84:85], a[4:5], v[56:59]// 000000006590: D3F30038 1CE20954
	v_mfma_f32_16x16x32_fp8_fp8 v[56:59], a[86:87], a[6:7], v[56:59]// 000000006598: D3F30038 1CE20D56
	v_mfma_f32_16x16x32_fp8_fp8 v[60:63], a[80:81], a[8:9], v[60:63]// 0000000065A0: D3F3003C 1CF21150
	buffer_load_dwordx4 a[76:79], v54, s[24:27], 0 offen offset:1024// 0000000065A8: E05C1400 80864C36
	buffer_load_dword v46, s[20:23], 0 offen lds               // 0000000065B0: E0511000 8005002E
	s_add_u32 m0, 0x100, s48                                   // 0000000065B8: 807C30FF 00000100
	v_mfma_f32_16x16x32_fp8_fp8 v[60:63], a[82:83], a[10:11], v[60:63]// 0000000065C0: D3F3003C 1CF21552
	v_mfma_f32_16x16x32_fp8_fp8 v[60:63], a[84:85], a[12:13], v[60:63]// 0000000065C8: D3F3003C 1CF21954
	buffer_load_dword v47, s[20:23], 0 offen lds               // 0000000065D0: E0511000 8005002F
	s_add_u32 m0, 0x200, s48                                   // 0000000065D8: 807C30FF 00000200
	v_mfma_f32_16x16x32_fp8_fp8 v[60:63], a[86:87], a[14:15], v[60:63]// 0000000065E0: D3F3003C 1CF21D56
	v_mfma_f32_16x16x32_fp8_fp8 v[64:67], a[80:81], a[16:17], v[64:67]// 0000000065E8: D3F30040 1D022150
	buffer_load_dword v48, s[20:23], 0 offen lds               // 0000000065F0: E0511000 80050030
	s_add_u32 m0, 0x300, s48                                   // 0000000065F8: 807C30FF 00000300
	v_mfma_f32_16x16x32_fp8_fp8 v[64:67], a[82:83], a[18:19], v[64:67]// 000000006600: D3F30040 1D022552
	v_mfma_f32_16x16x32_fp8_fp8 v[64:67], a[84:85], a[20:21], v[64:67]// 000000006608: D3F30040 1D022954
	buffer_load_dword v49, s[20:23], 0 offen lds               // 000000006610: E0511000 80050031
	s_add_u32 m0, 0x400, s48                                   // 000000006618: 807C30FF 00000400
	v_mfma_f32_16x16x32_fp8_fp8 v[64:67], a[86:87], a[22:23], v[64:67]// 000000006620: D3F30040 1D022D56
	v_mfma_f32_16x16x32_fp8_fp8 v[68:71], a[80:81], a[24:25], v[68:71]// 000000006628: D3F30044 1D123150
	buffer_load_dword v50, s[20:23], 0 offen lds               // 000000006630: E0511000 80050032
	s_add_u32 m0, 0x500, s48                                   // 000000006638: 807C30FF 00000500
	v_mfma_f32_16x16x32_fp8_fp8 v[68:71], a[82:83], a[26:27], v[68:71]// 000000006640: D3F30044 1D123552
	v_mfma_f32_16x16x32_fp8_fp8 v[68:71], a[84:85], a[28:29], v[68:71]// 000000006648: D3F30044 1D123954
	buffer_load_dword v51, s[20:23], 0 offen lds               // 000000006650: E0511000 80050033
	s_add_u32 m0, 0x600, s48                                   // 000000006658: 807C30FF 00000600
	v_mfma_f32_16x16x32_fp8_fp8 v[68:71], a[86:87], a[30:31], v[68:71]// 000000006660: D3F30044 1D123D56
	buffer_load_dword v52, s[20:23], 0 offen lds               // 000000006668: E0511000 80050034
	s_add_u32 m0, 0x700, s48                                   // 000000006670: 807C30FF 00000700
	buffer_load_dword v53, s[20:23], 0 offen lds               // 000000006678: E0511000 80050035
	s_add_u32 m0, 0, s49                                       // 000000006680: 807C3180
	s_waitcnt vmcnt(10)                                        // 000000006684: BF8C0F7A
	s_barrier                                                  // 000000006688: BF8A0000
	v_mfma_f32_16x16x32_fp8_fp8 v[72:75], a[64:65], a[0:1], v[72:75]// 00000000668C: D3F30048 1D220140
	buffer_load_dwordx4 a[80:83], v54, s[84:87], 0 offen       // 000000006694: E05C1000 80955036
	v_mfma_f32_16x16x32_fp8_fp8 v[72:75], a[66:67], a[2:3], v[72:75]// 00000000669C: D3F30048 1D220542
	v_mfma_f32_16x16x32_fp8_fp8 v[72:75], a[68:69], a[4:5], v[72:75]// 0000000066A4: D3F30048 1D220944
	ds_read_b128 a[32:35], v2 offset:16640                     // 0000000066AC: DBFE4100 20000002
	ds_read_b128 a[36:39], v2 offset:16704                     // 0000000066B4: DBFE4140 24000002
	v_mfma_f32_16x16x32_fp8_fp8 v[72:75], a[70:71], a[6:7], v[72:75]// 0000000066BC: D3F30048 1D220D46
	v_mfma_f32_16x16x32_fp8_fp8 v[76:79], a[64:65], a[8:9], v[76:79]// 0000000066C4: D3F3004C 1D321140
	buffer_load_dwordx4 a[84:87], v54, s[84:87], 0 offen offset:1024// 0000000066CC: E05C1400 80955436
	v_mfma_f32_16x16x32_fp8_fp8 v[76:79], a[66:67], a[10:11], v[76:79]// 0000000066D4: D3F3004C 1D321542
	v_mfma_f32_16x16x32_fp8_fp8 v[76:79], a[68:69], a[12:13], v[76:79]// 0000000066DC: D3F3004C 1D321944
	ds_read_b128 a[40:43], v2 offset:17152                     // 0000000066E4: DBFE4300 28000002
	ds_read_b128 a[44:47], v2 offset:17216                     // 0000000066EC: DBFE4340 2C000002
	v_mfma_f32_16x16x32_fp8_fp8 v[76:79], a[70:71], a[14:15], v[76:79]// 0000000066F4: D3F3004C 1D321D46
	v_mfma_f32_16x16x32_fp8_fp8 v[80:83], a[64:65], a[16:17], v[80:83]// 0000000066FC: D3F30050 1D422140
	s_add_u32 s60, 0x180, s80                                  // 000000006704: 803C50FF 00000180
	s_cmp_lt_u32 s60, s81                                      // 00000000670C: BF0A513C
	s_cselect_b32 s57, s57, 0                                  // 000000006710: 85398039
	v_mfma_f32_16x16x32_fp8_fp8 v[80:83], a[66:67], a[18:19], v[80:83]// 000000006714: D3F30050 1D422542
	s_add_u32 s60, 0x100, s80                                  // 00000000671C: 803C50FF 00000100
	s_cmp_lt_u32 s60, s81                                      // 000000006724: BF0A513C
	s_cselect_b32 s58, s58, 0                                  // 000000006728: 853A803A
	v_mfma_f32_16x16x32_fp8_fp8 v[80:83], a[68:69], a[20:21], v[80:83]// 00000000672C: D3F30050 1D422944
	ds_read_b128 a[48:51], v2 offset:17664                     // 000000006734: DBFE4500 30000002
	ds_read_b128 a[52:55], v2 offset:17728                     // 00000000673C: DBFE4540 34000002
	s_add_u32 s60, 0x100, s80                                  // 000000006744: 803C50FF 00000100
	s_cmp_lt_u32 s60, s81                                      // 00000000674C: BF0A513C
	s_cselect_b32 s83, s83, 0                                  // 000000006750: 85538053
	v_mfma_f32_16x16x32_fp8_fp8 v[80:83], a[70:71], a[22:23], v[80:83]// 000000006754: D3F30050 1D422D46
	s_add_u32 s24, s58, s24                                    // 00000000675C: 8018183A
	s_addc_u32 s25, 0, s25                                     // 000000006760: 82191980
	v_mfma_f32_16x16x32_fp8_fp8 v[84:87], a[64:65], a[24:25], v[84:87]// 000000006764: D3F30054 1D523140
	s_add_u32 s20, s57, s20                                    // 00000000676C: 80141439
	s_addc_u32 s21, 0, s21                                     // 000000006770: 82151580
	v_mfma_f32_16x16x32_fp8_fp8 v[84:87], a[66:67], a[26:27], v[84:87]// 000000006774: D3F30054 1D523542
	s_add_u32 s84, s83, s84                                    // 00000000677C: 80545453
	s_addc_u32 s85, 0, s85                                     // 000000006780: 82555580
	v_mfma_f32_16x16x32_fp8_fp8 v[84:87], a[68:69], a[28:29], v[84:87]// 000000006784: D3F30054 1D523944
	ds_read_b128 a[56:59], v2 offset:18176                     // 00000000678C: DBFE4700 38000002
	ds_read_b128 a[60:63], v2 offset:18240                     // 000000006794: DBFE4740 3C000002
	v_mfma_f32_16x16x32_fp8_fp8 v[84:87], a[70:71], a[30:31], v[84:87]// 00000000679C: D3F30054 1D523D46
	s_addk_i32 s80, 0x80                                       // 0000000067A4: B7500080
	s_cmp_lt_i32 s80, s81                                      // 0000000067A8: BF045150
	s_cbranch_scc0 label_0FFF                                  // 0000000067AC: BF840090
	s_waitcnt vmcnt(10) lgkmcnt(0)                             // 0000000067B0: BF8C007A
	v_mfma_f32_16x16x32_fp8_fp8 v[56:59], a[72:73], a[32:33], v[56:59]// 0000000067B4: D3F30038 1CE24148
	buffer_load_dwordx4 a[64:67], v54, s[24:27], 0 offen       // 0000000067BC: E05C1000 80864036
	v_mfma_f32_16x16x32_fp8_fp8 v[56:59], a[74:75], a[34:35], v[56:59]// 0000000067C4: D3F30038 1CE2454A
	v_mfma_f32_16x16x32_fp8_fp8 v[56:59], a[76:77], a[36:37], v[56:59]// 0000000067CC: D3F30038 1CE2494C
	v_mfma_f32_16x16x32_fp8_fp8 v[56:59], a[78:79], a[38:39], v[56:59]// 0000000067D4: D3F30038 1CE24D4E
	v_mfma_f32_16x16x32_fp8_fp8 v[60:63], a[72:73], a[40:41], v[60:63]// 0000000067DC: D3F3003C 1CF25148
	buffer_load_dwordx4 a[68:71], v54, s[24:27], 0 offen offset:1024// 0000000067E4: E05C1400 80864436
	buffer_load_dword v46, s[20:23], 0 offen lds               // 0000000067EC: E0511000 8005002E
	s_add_u32 m0, 0x100, s49                                   // 0000000067F4: 807C31FF 00000100
	v_mfma_f32_16x16x32_fp8_fp8 v[60:63], a[74:75], a[42:43], v[60:63]// 0000000067FC: D3F3003C 1CF2554A
	v_mfma_f32_16x16x32_fp8_fp8 v[60:63], a[76:77], a[44:45], v[60:63]// 000000006804: D3F3003C 1CF2594C
	buffer_load_dword v47, s[20:23], 0 offen lds               // 00000000680C: E0511000 8005002F
	s_add_u32 m0, 0x200, s49                                   // 000000006814: 807C31FF 00000200
	v_mfma_f32_16x16x32_fp8_fp8 v[60:63], a[78:79], a[46:47], v[60:63]// 00000000681C: D3F3003C 1CF25D4E
	v_mfma_f32_16x16x32_fp8_fp8 v[64:67], a[72:73], a[48:49], v[64:67]// 000000006824: D3F30040 1D026148
	buffer_load_dword v48, s[20:23], 0 offen lds               // 00000000682C: E0511000 80050030
	s_add_u32 m0, 0x300, s49                                   // 000000006834: 807C31FF 00000300
	v_mfma_f32_16x16x32_fp8_fp8 v[64:67], a[74:75], a[50:51], v[64:67]// 00000000683C: D3F30040 1D02654A
	v_mfma_f32_16x16x32_fp8_fp8 v[64:67], a[76:77], a[52:53], v[64:67]// 000000006844: D3F30040 1D02694C
	buffer_load_dword v49, s[20:23], 0 offen lds               // 00000000684C: E0511000 80050031
	s_add_u32 m0, 0x400, s49                                   // 000000006854: 807C31FF 00000400
	v_mfma_f32_16x16x32_fp8_fp8 v[64:67], a[78:79], a[54:55], v[64:67]// 00000000685C: D3F30040 1D026D4E
	v_mfma_f32_16x16x32_fp8_fp8 v[68:71], a[72:73], a[56:57], v[68:71]// 000000006864: D3F30044 1D127148
	buffer_load_dword v50, s[20:23], 0 offen lds               // 00000000686C: E0511000 80050032
	s_add_u32 m0, 0x500, s49                                   // 000000006874: 807C31FF 00000500
	v_mfma_f32_16x16x32_fp8_fp8 v[68:71], a[74:75], a[58:59], v[68:71]// 00000000687C: D3F30044 1D12754A
	v_mfma_f32_16x16x32_fp8_fp8 v[68:71], a[76:77], a[60:61], v[68:71]// 000000006884: D3F30044 1D12794C
	buffer_load_dword v51, s[20:23], 0 offen lds               // 00000000688C: E0511000 80050033
	s_add_u32 m0, 0x600, s49                                   // 000000006894: 807C31FF 00000600
	v_mfma_f32_16x16x32_fp8_fp8 v[68:71], a[78:79], a[62:63], v[68:71]// 00000000689C: D3F30044 1D127D4E
	buffer_load_dword v52, s[20:23], 0 offen lds               // 0000000068A4: E0511000 80050034
	s_add_u32 m0, 0x700, s49                                   // 0000000068AC: 807C31FF 00000700
	buffer_load_dword v53, s[20:23], 0 offen lds               // 0000000068B4: E0511000 80050035
	s_add_u32 m0, 0, s50                                       // 0000000068BC: 807C3280
	s_waitcnt vmcnt(10)                                        // 0000000068C0: BF8C0F7A
	s_barrier                                                  // 0000000068C4: BF8A0000
	v_mfma_f32_16x16x32_fp8_fp8 v[72:75], a[80:81], a[32:33], v[72:75]// 0000000068C8: D3F30048 1D224150
	buffer_load_dwordx4 a[72:75], v54, s[84:87], 0 offen       // 0000000068D0: E05C1000 80954836
	v_mfma_f32_16x16x32_fp8_fp8 v[72:75], a[82:83], a[34:35], v[72:75]// 0000000068D8: D3F30048 1D224552
	v_mfma_f32_16x16x32_fp8_fp8 v[72:75], a[84:85], a[36:37], v[72:75]// 0000000068E0: D3F30048 1D224954
	ds_read_b128 a[0:3], v2                                    // 0000000068E8: DBFE0000 00000002
	ds_read_b128 a[4:7], v2 offset:64                          // 0000000068F0: DBFE0040 04000002
	v_mfma_f32_16x16x32_fp8_fp8 v[72:75], a[86:87], a[38:39], v[72:75]// 0000000068F8: D3F30048 1D224D56
	v_mfma_f32_16x16x32_fp8_fp8 v[76:79], a[80:81], a[40:41], v[76:79]// 000000006900: D3F3004C 1D325150
	buffer_load_dwordx4 a[76:79], v54, s[84:87], 0 offen offset:1024// 000000006908: E05C1400 80954C36
	v_mfma_f32_16x16x32_fp8_fp8 v[76:79], a[82:83], a[42:43], v[76:79]// 000000006910: D3F3004C 1D325552
	v_mfma_f32_16x16x32_fp8_fp8 v[76:79], a[84:85], a[44:45], v[76:79]// 000000006918: D3F3004C 1D325954
	ds_read_b128 a[8:11], v2 offset:512                        // 000000006920: DBFE0200 08000002
	ds_read_b128 a[12:15], v2 offset:576                       // 000000006928: DBFE0240 0C000002
	v_mfma_f32_16x16x32_fp8_fp8 v[76:79], a[86:87], a[46:47], v[76:79]// 000000006930: D3F3004C 1D325D56
	v_mfma_f32_16x16x32_fp8_fp8 v[80:83], a[80:81], a[48:49], v[80:83]// 000000006938: D3F30050 1D426150
	s_add_u32 s60, 0x180, s80                                  // 000000006940: 803C50FF 00000180
	s_cmp_lt_u32 s60, s81                                      // 000000006948: BF0A513C
	s_cselect_b32 s57, s57, 0                                  // 00000000694C: 85398039
	v_mfma_f32_16x16x32_fp8_fp8 v[80:83], a[82:83], a[50:51], v[80:83]// 000000006950: D3F30050 1D426552
	s_add_u32 s60, 0x100, s80                                  // 000000006958: 803C50FF 00000100
	s_cmp_lt_u32 s60, s81                                      // 000000006960: BF0A513C
	s_cselect_b32 s58, s58, 0                                  // 000000006964: 853A803A
	v_mfma_f32_16x16x32_fp8_fp8 v[80:83], a[84:85], a[52:53], v[80:83]// 000000006968: D3F30050 1D426954
	ds_read_b128 a[16:19], v2 offset:1024                      // 000000006970: DBFE0400 10000002
	ds_read_b128 a[20:23], v2 offset:1088                      // 000000006978: DBFE0440 14000002
	s_add_u32 s60, 0x100, s80                                  // 000000006980: 803C50FF 00000100
	s_cmp_lt_u32 s60, s81                                      // 000000006988: BF0A513C
	s_cselect_b32 s83, s83, 0                                  // 00000000698C: 85538053
	v_mfma_f32_16x16x32_fp8_fp8 v[80:83], a[86:87], a[54:55], v[80:83]// 000000006990: D3F30050 1D426D56
	s_add_u32 s24, s58, s24                                    // 000000006998: 8018183A
	s_addc_u32 s25, 0, s25                                     // 00000000699C: 82191980
	v_mfma_f32_16x16x32_fp8_fp8 v[84:87], a[80:81], a[56:57], v[84:87]// 0000000069A0: D3F30054 1D527150
	s_add_u32 s20, s57, s20                                    // 0000000069A8: 80141439
	s_addc_u32 s21, 0, s21                                     // 0000000069AC: 82151580
	v_mfma_f32_16x16x32_fp8_fp8 v[84:87], a[82:83], a[58:59], v[84:87]// 0000000069B0: D3F30054 1D527552
	s_add_u32 s84, s83, s84                                    // 0000000069B8: 80545453
	s_addc_u32 s85, 0, s85                                     // 0000000069BC: 82555580
	v_mfma_f32_16x16x32_fp8_fp8 v[84:87], a[84:85], a[60:61], v[84:87]// 0000000069C0: D3F30054 1D527954
	ds_read_b128 a[24:27], v2 offset:1536                      // 0000000069C8: DBFE0600 18000002
	ds_read_b128 a[28:31], v2 offset:1600                      // 0000000069D0: DBFE0640 1C000002
	v_mfma_f32_16x16x32_fp8_fp8 v[84:87], a[86:87], a[62:63], v[84:87]// 0000000069D8: D3F30054 1D527D56
	s_addk_i32 s80, 0x80                                       // 0000000069E0: B7500080
	s_cmp_lt_i32 s80, s81                                      // 0000000069E4: BF045150
	s_cbranch_scc0 label_0FFF                                  // 0000000069E8: BF840001
	s_branch label_0CA4                                        // 0000000069EC: BF82FCA5

00000000000069f0 <label_0FFF>:
	v_mul_f32_dpp v56, v24, v56 row_newbcast:0 row_mask:0xf bank_mask:0xf// 0000000069F0: 0A7070FA FF015018
	v_mul_f32_dpp v57, v24, v57 row_newbcast:1 row_mask:0xf bank_mask:0xf// 0000000069F8: 0A7272FA FF015118
	v_mul_f32_dpp v58, v24, v58 row_newbcast:2 row_mask:0xf bank_mask:0xf// 000000006A00: 0A7474FA FF015218
	v_mul_f32_dpp v59, v24, v59 row_newbcast:3 row_mask:0xf bank_mask:0xf// 000000006A08: 0A7676FA FF015318
	v_mul_f32_dpp v60, v24, v60 row_newbcast:0 row_mask:0xf bank_mask:0xf// 000000006A10: 0A7878FA FF015018
	v_mul_f32_dpp v61, v24, v61 row_newbcast:1 row_mask:0xf bank_mask:0xf// 000000006A18: 0A7A7AFA FF015118
	v_mul_f32_dpp v62, v24, v62 row_newbcast:2 row_mask:0xf bank_mask:0xf// 000000006A20: 0A7C7CFA FF015218
	v_mul_f32_dpp v63, v24, v63 row_newbcast:3 row_mask:0xf bank_mask:0xf// 000000006A28: 0A7E7EFA FF015318
	v_mul_f32_dpp v64, v24, v64 row_newbcast:0 row_mask:0xf bank_mask:0xf// 000000006A30: 0A8080FA FF015018
	v_mul_f32_dpp v65, v24, v65 row_newbcast:1 row_mask:0xf bank_mask:0xf// 000000006A38: 0A8282FA FF015118
	v_mul_f32_dpp v66, v24, v66 row_newbcast:2 row_mask:0xf bank_mask:0xf// 000000006A40: 0A8484FA FF015218
	v_mul_f32_dpp v67, v24, v67 row_newbcast:3 row_mask:0xf bank_mask:0xf// 000000006A48: 0A8686FA FF015318
	v_mul_f32_dpp v68, v24, v68 row_newbcast:0 row_mask:0xf bank_mask:0xf// 000000006A50: 0A8888FA FF015018
	v_mul_f32_dpp v69, v24, v69 row_newbcast:1 row_mask:0xf bank_mask:0xf// 000000006A58: 0A8A8AFA FF015118
	v_mul_f32_dpp v70, v24, v70 row_newbcast:2 row_mask:0xf bank_mask:0xf// 000000006A60: 0A8C8CFA FF015218
	v_mul_f32_dpp v71, v24, v71 row_newbcast:3 row_mask:0xf bank_mask:0xf// 000000006A68: 0A8E8EFA FF015318
	v_mul_f32_dpp v72, v27, v72 row_newbcast:0 row_mask:0xf bank_mask:0xf// 000000006A70: 0A9090FA FF01501B
	v_mul_f32_dpp v73, v27, v73 row_newbcast:1 row_mask:0xf bank_mask:0xf// 000000006A78: 0A9292FA FF01511B
	v_mul_f32_dpp v74, v27, v74 row_newbcast:2 row_mask:0xf bank_mask:0xf// 000000006A80: 0A9494FA FF01521B
	v_mul_f32_dpp v75, v27, v75 row_newbcast:3 row_mask:0xf bank_mask:0xf// 000000006A88: 0A9696FA FF01531B
	v_mul_f32_dpp v76, v27, v76 row_newbcast:0 row_mask:0xf bank_mask:0xf// 000000006A90: 0A9898FA FF01501B
	v_mul_f32_dpp v77, v27, v77 row_newbcast:1 row_mask:0xf bank_mask:0xf// 000000006A98: 0A9A9AFA FF01511B
	v_mul_f32_dpp v78, v27, v78 row_newbcast:2 row_mask:0xf bank_mask:0xf// 000000006AA0: 0A9C9CFA FF01521B
	v_mul_f32_dpp v79, v27, v79 row_newbcast:3 row_mask:0xf bank_mask:0xf// 000000006AA8: 0A9E9EFA FF01531B
	v_mul_f32_dpp v80, v27, v80 row_newbcast:0 row_mask:0xf bank_mask:0xf// 000000006AB0: 0AA0A0FA FF01501B
	v_mul_f32_dpp v81, v27, v81 row_newbcast:1 row_mask:0xf bank_mask:0xf// 000000006AB8: 0AA2A2FA FF01511B
	v_mul_f32_dpp v82, v27, v82 row_newbcast:2 row_mask:0xf bank_mask:0xf// 000000006AC0: 0AA4A4FA FF01521B
	v_mul_f32_dpp v83, v27, v83 row_newbcast:3 row_mask:0xf bank_mask:0xf// 000000006AC8: 0AA6A6FA FF01531B
	v_mul_f32_dpp v84, v27, v84 row_newbcast:0 row_mask:0xf bank_mask:0xf// 000000006AD0: 0AA8A8FA FF01501B
	v_mul_f32_dpp v85, v27, v85 row_newbcast:1 row_mask:0xf bank_mask:0xf// 000000006AD8: 0AAAAAFA FF01511B
	v_mul_f32_dpp v86, v27, v86 row_newbcast:2 row_mask:0xf bank_mask:0xf// 000000006AE0: 0AACACFA FF01521B
	v_mul_f32_dpp v87, v27, v87 row_newbcast:3 row_mask:0xf bank_mask:0xf// 000000006AE8: 0AAEAEFA FF01531B
	v_mul_f32_e32 v34, v34, v88                                // 000000006AF0: 0A44B122
	v_mov_b32_e32 v4, v34                                      // 000000006AF4: 7E080322
	v_mov_b32_e32 v5, v4                                       // 000000006AF8: 7E0A0304
	v_pk_mul_f32 v[56:57], v[4:5], v[56:57]                    // 000000006AFC: D3B14038 18027104
	v_pk_mul_f32 v[72:73], v[4:5], v[72:73]                    // 000000006B04: D3B14048 18029104
	v_pk_mul_f32 v[58:59], v[4:5], v[58:59]                    // 000000006B0C: D3B1403A 18027504
	v_pk_mul_f32 v[74:75], v[4:5], v[74:75]                    // 000000006B14: D3B1404A 18029504
	v_mul_f32_e32 v35, v35, v89                                // 000000006B1C: 0A46B323
	v_mov_b32_e32 v4, v35                                      // 000000006B20: 7E080323
	v_mov_b32_e32 v5, v4                                       // 000000006B24: 7E0A0304
	v_pk_mul_f32 v[60:61], v[4:5], v[60:61]                    // 000000006B28: D3B1403C 18027904
	v_pk_mul_f32 v[76:77], v[4:5], v[76:77]                    // 000000006B30: D3B1404C 18029904
	v_pk_mul_f32 v[62:63], v[4:5], v[62:63]                    // 000000006B38: D3B1403E 18027D04
	v_pk_mul_f32 v[78:79], v[4:5], v[78:79]                    // 000000006B40: D3B1404E 18029D04
	v_mul_f32_e32 v36, v36, v90                                // 000000006B48: 0A48B524
	v_mov_b32_e32 v4, v36                                      // 000000006B4C: 7E080324
	v_mov_b32_e32 v5, v4                                       // 000000006B50: 7E0A0304
	v_pk_mul_f32 v[64:65], v[4:5], v[64:65]                    // 000000006B54: D3B14040 18028104
	v_pk_mul_f32 v[80:81], v[4:5], v[80:81]                    // 000000006B5C: D3B14050 1802A104
	v_pk_mul_f32 v[66:67], v[4:5], v[66:67]                    // 000000006B64: D3B14042 18028504
	v_pk_mul_f32 v[82:83], v[4:5], v[82:83]                    // 000000006B6C: D3B14052 1802A504
	v_mul_f32_e32 v37, v37, v91                                // 000000006B74: 0A4AB725
	v_mov_b32_e32 v4, v37                                      // 000000006B78: 7E080325
	v_mov_b32_e32 v5, v4                                       // 000000006B7C: 7E0A0304
	v_pk_mul_f32 v[68:69], v[4:5], v[68:69]                    // 000000006B80: D3B14044 18028904
	v_pk_mul_f32 v[84:85], v[4:5], v[84:85]                    // 000000006B88: D3B14054 1802A904
	v_pk_mul_f32 v[70:71], v[4:5], v[70:71]                    // 000000006B90: D3B14046 18028D04
	v_pk_mul_f32 v[86:87], v[4:5], v[86:87]                    // 000000006B98: D3B14056 1802AD04
	s_cmp_eq_u32 s88, 0                                        // 000000006BA0: BF068058
	s_cbranch_scc0 label_1376                                  // 000000006BA4: BF840309
	s_cmp_eq_u32 s89, 0                                        // 000000006BA8: BF068059
	s_cbranch_scc1 label_1114                                  // 000000006BAC: BF8500A5
	v_mov_b32_e32 v8, v1                                       // 000000006BB0: 7E100301
	v_mov_b32_e32 v9, v1                                       // 000000006BB4: 7E120301
	s_mov_b32 s60, s6                                          // 000000006BB8: BEBC0006
	s_mov_b32 s61, s6                                          // 000000006BBC: BEBD0006
	v_pk_mul_f32 v[4:5], v[56:57], v[56:57]                    // 000000006BC0: D3B14004 18027138
	v_pk_mul_f32 v[6:7], v[58:59], v[58:59]                    // 000000006BC8: D3B14006 1802753A
	v_pk_fma_f32 v[4:5], v[4:5], s[78:79], v[8:9]              // 000000006BD0: D3B04004 1C209D04
	v_pk_fma_f32 v[6:7], v[6:7], s[78:79], v[8:9]              // 000000006BD8: D3B04006 1C209D06
	v_pk_mul_f32 v[4:5], v[4:5], v[56:57]                      // 000000006BE0: D3B14004 18027104
	v_pk_mul_f32 v[6:7], v[6:7], v[58:59]                      // 000000006BE8: D3B14006 18027506
	v_pk_mul_f32 v[4:5], v[4:5], s[60:61]                      // 000000006BF0: D3B14004 18007904
	v_pk_mul_f32 v[6:7], v[6:7], s[60:61]                      // 000000006BF8: D3B14006 18007906
	v_exp_f32_e32 v4, v4                                       // 000000006C00: 7E084104
	v_exp_f32_e32 v5, v5                                       // 000000006C04: 7E0A4105
	v_exp_f32_e32 v6, v6                                       // 000000006C08: 7E0C4106
	v_exp_f32_e32 v7, v7                                       // 000000006C0C: 7E0E4107
	v_add_f32_e64 v4, v4, 1.0                                  // 000000006C10: D1010004 0001E504
	v_add_f32_e64 v5, v5, 1.0                                  // 000000006C18: D1010005 0001E505
	v_add_f32_e64 v6, v6, 1.0                                  // 000000006C20: D1010006 0001E506
	v_add_f32_e64 v7, v7, 1.0                                  // 000000006C28: D1010007 0001E507
	v_rcp_f32_e32 v4, v4                                       // 000000006C30: 7E084504
	v_rcp_f32_e32 v5, v5                                       // 000000006C34: 7E0A4505
	v_rcp_f32_e32 v6, v6                                       // 000000006C38: 7E0C4506
	v_rcp_f32_e32 v7, v7                                       // 000000006C3C: 7E0E4507
	v_mul_f32_e32 v56, v56, v4                                 // 000000006C40: 0A700938
	v_mul_f32_e32 v57, v57, v5                                 // 000000006C44: 0A720B39
	v_mul_f32_e32 v58, v58, v6                                 // 000000006C48: 0A740D3A
	v_mul_f32_e32 v59, v59, v7                                 // 000000006C4C: 0A760F3B
	v_mul_f32_e32 v56, v56, v72                                // 000000006C50: 0A709138
	v_mul_f32_e32 v57, v57, v73                                // 000000006C54: 0A729339
	v_mul_f32_e32 v58, v58, v74                                // 000000006C58: 0A74953A
	v_mul_f32_e32 v59, v59, v75                                // 000000006C5C: 0A76973B
	v_pk_mul_f32 v[4:5], v[60:61], v[60:61]                    // 000000006C60: D3B14004 1802793C
	v_pk_mul_f32 v[6:7], v[62:63], v[62:63]                    // 000000006C68: D3B14006 18027D3E
	v_pk_fma_f32 v[4:5], v[4:5], s[78:79], v[8:9]              // 000000006C70: D3B04004 1C209D04
	v_pk_fma_f32 v[6:7], v[6:7], s[78:79], v[8:9]              // 000000006C78: D3B04006 1C209D06
	v_pk_mul_f32 v[4:5], v[4:5], v[60:61]                      // 000000006C80: D3B14004 18027904
	v_pk_mul_f32 v[6:7], v[6:7], v[62:63]                      // 000000006C88: D3B14006 18027D06
	v_pk_mul_f32 v[4:5], v[4:5], s[60:61]                      // 000000006C90: D3B14004 18007904
	v_pk_mul_f32 v[6:7], v[6:7], s[60:61]                      // 000000006C98: D3B14006 18007906
	v_exp_f32_e32 v4, v4                                       // 000000006CA0: 7E084104
	v_exp_f32_e32 v5, v5                                       // 000000006CA4: 7E0A4105
	v_exp_f32_e32 v6, v6                                       // 000000006CA8: 7E0C4106
	v_exp_f32_e32 v7, v7                                       // 000000006CAC: 7E0E4107
	v_add_f32_e64 v4, v4, 1.0                                  // 000000006CB0: D1010004 0001E504
	v_add_f32_e64 v5, v5, 1.0                                  // 000000006CB8: D1010005 0001E505
	v_add_f32_e64 v6, v6, 1.0                                  // 000000006CC0: D1010006 0001E506
	v_add_f32_e64 v7, v7, 1.0                                  // 000000006CC8: D1010007 0001E507
	v_rcp_f32_e32 v4, v4                                       // 000000006CD0: 7E084504
	v_rcp_f32_e32 v5, v5                                       // 000000006CD4: 7E0A4505
	v_rcp_f32_e32 v6, v6                                       // 000000006CD8: 7E0C4506
	v_rcp_f32_e32 v7, v7                                       // 000000006CDC: 7E0E4507
	v_mul_f32_e32 v60, v60, v4                                 // 000000006CE0: 0A78093C
	v_mul_f32_e32 v61, v61, v5                                 // 000000006CE4: 0A7A0B3D
	v_mul_f32_e32 v62, v62, v6                                 // 000000006CE8: 0A7C0D3E
	v_mul_f32_e32 v63, v63, v7                                 // 000000006CEC: 0A7E0F3F
	v_mul_f32_e32 v60, v60, v76                                // 000000006CF0: 0A78993C
	v_mul_f32_e32 v61, v61, v77                                // 000000006CF4: 0A7A9B3D
	v_mul_f32_e32 v62, v62, v78                                // 000000006CF8: 0A7C9D3E
	v_mul_f32_e32 v63, v63, v79                                // 000000006CFC: 0A7E9F3F
	v_pk_mul_f32 v[4:5], v[64:65], v[64:65]                    // 000000006D00: D3B14004 18028140
	v_pk_mul_f32 v[6:7], v[66:67], v[66:67]                    // 000000006D08: D3B14006 18028542
	v_pk_fma_f32 v[4:5], v[4:5], s[78:79], v[8:9]              // 000000006D10: D3B04004 1C209D04
	v_pk_fma_f32 v[6:7], v[6:7], s[78:79], v[8:9]              // 000000006D18: D3B04006 1C209D06
	v_pk_mul_f32 v[4:5], v[4:5], v[64:65]                      // 000000006D20: D3B14004 18028104
	v_pk_mul_f32 v[6:7], v[6:7], v[66:67]                      // 000000006D28: D3B14006 18028506
	v_pk_mul_f32 v[4:5], v[4:5], s[60:61]                      // 000000006D30: D3B14004 18007904
	v_pk_mul_f32 v[6:7], v[6:7], s[60:61]                      // 000000006D38: D3B14006 18007906
	v_exp_f32_e32 v4, v4                                       // 000000006D40: 7E084104
	v_exp_f32_e32 v5, v5                                       // 000000006D44: 7E0A4105
	v_exp_f32_e32 v6, v6                                       // 000000006D48: 7E0C4106
	v_exp_f32_e32 v7, v7                                       // 000000006D4C: 7E0E4107
	v_add_f32_e64 v4, v4, 1.0                                  // 000000006D50: D1010004 0001E504
	v_add_f32_e64 v5, v5, 1.0                                  // 000000006D58: D1010005 0001E505
	v_add_f32_e64 v6, v6, 1.0                                  // 000000006D60: D1010006 0001E506
	v_add_f32_e64 v7, v7, 1.0                                  // 000000006D68: D1010007 0001E507
	v_rcp_f32_e32 v4, v4                                       // 000000006D70: 7E084504
	v_rcp_f32_e32 v5, v5                                       // 000000006D74: 7E0A4505
	v_rcp_f32_e32 v6, v6                                       // 000000006D78: 7E0C4506
	v_rcp_f32_e32 v7, v7                                       // 000000006D7C: 7E0E4507
	v_mul_f32_e32 v64, v64, v4                                 // 000000006D80: 0A800940
	v_mul_f32_e32 v65, v65, v5                                 // 000000006D84: 0A820B41
	v_mul_f32_e32 v66, v66, v6                                 // 000000006D88: 0A840D42
	v_mul_f32_e32 v67, v67, v7                                 // 000000006D8C: 0A860F43
	v_mul_f32_e32 v64, v64, v80                                // 000000006D90: 0A80A140
	v_mul_f32_e32 v65, v65, v81                                // 000000006D94: 0A82A341
	v_mul_f32_e32 v66, v66, v82                                // 000000006D98: 0A84A542
	v_mul_f32_e32 v67, v67, v83                                // 000000006D9C: 0A86A743
	v_pk_mul_f32 v[4:5], v[68:69], v[68:69]                    // 000000006DA0: D3B14004 18028944
	v_pk_mul_f32 v[6:7], v[70:71], v[70:71]                    // 000000006DA8: D3B14006 18028D46
	v_pk_fma_f32 v[4:5], v[4:5], s[78:79], v[8:9]              // 000000006DB0: D3B04004 1C209D04
	v_pk_fma_f32 v[6:7], v[6:7], s[78:79], v[8:9]              // 000000006DB8: D3B04006 1C209D06
	v_pk_mul_f32 v[4:5], v[4:5], v[68:69]                      // 000000006DC0: D3B14004 18028904
	v_pk_mul_f32 v[6:7], v[6:7], v[70:71]                      // 000000006DC8: D3B14006 18028D06
	v_pk_mul_f32 v[4:5], v[4:5], s[60:61]                      // 000000006DD0: D3B14004 18007904
	v_pk_mul_f32 v[6:7], v[6:7], s[60:61]                      // 000000006DD8: D3B14006 18007906
	v_exp_f32_e32 v4, v4                                       // 000000006DE0: 7E084104
	v_exp_f32_e32 v5, v5                                       // 000000006DE4: 7E0A4105
	v_exp_f32_e32 v6, v6                                       // 000000006DE8: 7E0C4106
	v_exp_f32_e32 v7, v7                                       // 000000006DEC: 7E0E4107
	v_add_f32_e64 v4, v4, 1.0                                  // 000000006DF0: D1010004 0001E504
	v_add_f32_e64 v5, v5, 1.0                                  // 000000006DF8: D1010005 0001E505
	v_add_f32_e64 v6, v6, 1.0                                  // 000000006E00: D1010006 0001E506
	v_add_f32_e64 v7, v7, 1.0                                  // 000000006E08: D1010007 0001E507
	v_rcp_f32_e32 v4, v4                                       // 000000006E10: 7E084504
	v_rcp_f32_e32 v5, v5                                       // 000000006E14: 7E0A4505
	v_rcp_f32_e32 v6, v6                                       // 000000006E18: 7E0C4506
	v_rcp_f32_e32 v7, v7                                       // 000000006E1C: 7E0E4507
	v_mul_f32_e32 v68, v68, v4                                 // 000000006E20: 0A880944
	v_mul_f32_e32 v69, v69, v5                                 // 000000006E24: 0A8A0B45
	v_mul_f32_e32 v70, v70, v6                                 // 000000006E28: 0A8C0D46
	v_mul_f32_e32 v71, v71, v7                                 // 000000006E2C: 0A8E0F47
	v_mul_f32_e32 v68, v68, v84                                // 000000006E30: 0A88A944
	v_mul_f32_e32 v69, v69, v85                                // 000000006E34: 0A8AAB45
	v_mul_f32_e32 v70, v70, v86                                // 000000006E38: 0A8CAD46
	v_mul_f32_e32 v71, v71, v87                                // 000000006E3C: 0A8EAF47
	s_branch label_1194                                        // 000000006E40: BF820080

0000000000006e44 <label_1114>:
	v_mul_f32_e64 v4, -v56, s6                                 // 000000006E44: D1050004 20000D38
	v_mul_f32_e64 v5, -v57, s6                                 // 000000006E4C: D1050005 20000D39
	v_mul_f32_e64 v6, -v58, s6                                 // 000000006E54: D1050006 20000D3A
	v_mul_f32_e64 v7, -v59, s6                                 // 000000006E5C: D1050007 20000D3B
	v_exp_f32_e32 v4, v4                                       // 000000006E64: 7E084104
	v_exp_f32_e32 v5, v5                                       // 000000006E68: 7E0A4105
	v_exp_f32_e32 v6, v6                                       // 000000006E6C: 7E0C4106
	v_exp_f32_e32 v7, v7                                       // 000000006E70: 7E0E4107
	v_add_f32_e64 v4, v4, 1.0                                  // 000000006E74: D1010004 0001E504
	v_add_f32_e64 v5, v5, 1.0                                  // 000000006E7C: D1010005 0001E505
	v_add_f32_e64 v6, v6, 1.0                                  // 000000006E84: D1010006 0001E506
	v_add_f32_e64 v7, v7, 1.0                                  // 000000006E8C: D1010007 0001E507
	v_rcp_f32_e32 v4, v4                                       // 000000006E94: 7E084504
	v_rcp_f32_e32 v5, v5                                       // 000000006E98: 7E0A4505
	v_rcp_f32_e32 v6, v6                                       // 000000006E9C: 7E0C4506
	v_rcp_f32_e32 v7, v7                                       // 000000006EA0: 7E0E4507
	v_mul_f32_e32 v56, v56, v4                                 // 000000006EA4: 0A700938
	v_mul_f32_e32 v57, v57, v5                                 // 000000006EA8: 0A720B39
	v_mul_f32_e32 v58, v58, v6                                 // 000000006EAC: 0A740D3A
	v_mul_f32_e32 v59, v59, v7                                 // 000000006EB0: 0A760F3B
	v_mul_f32_e32 v56, v56, v72                                // 000000006EB4: 0A709138
	v_mul_f32_e32 v57, v57, v73                                // 000000006EB8: 0A729339
	v_mul_f32_e32 v58, v58, v74                                // 000000006EBC: 0A74953A
	v_mul_f32_e32 v59, v59, v75                                // 000000006EC0: 0A76973B
	v_mul_f32_e64 v4, -v60, s6                                 // 000000006EC4: D1050004 20000D3C
	v_mul_f32_e64 v5, -v61, s6                                 // 000000006ECC: D1050005 20000D3D
	v_mul_f32_e64 v6, -v62, s6                                 // 000000006ED4: D1050006 20000D3E
	v_mul_f32_e64 v7, -v63, s6                                 // 000000006EDC: D1050007 20000D3F
	v_exp_f32_e32 v4, v4                                       // 000000006EE4: 7E084104
	v_exp_f32_e32 v5, v5                                       // 000000006EE8: 7E0A4105
	v_exp_f32_e32 v6, v6                                       // 000000006EEC: 7E0C4106
	v_exp_f32_e32 v7, v7                                       // 000000006EF0: 7E0E4107
	v_add_f32_e64 v4, v4, 1.0                                  // 000000006EF4: D1010004 0001E504
	v_add_f32_e64 v5, v5, 1.0                                  // 000000006EFC: D1010005 0001E505
	v_add_f32_e64 v6, v6, 1.0                                  // 000000006F04: D1010006 0001E506
	v_add_f32_e64 v7, v7, 1.0                                  // 000000006F0C: D1010007 0001E507
	v_rcp_f32_e32 v4, v4                                       // 000000006F14: 7E084504
	v_rcp_f32_e32 v5, v5                                       // 000000006F18: 7E0A4505
	v_rcp_f32_e32 v6, v6                                       // 000000006F1C: 7E0C4506
	v_rcp_f32_e32 v7, v7                                       // 000000006F20: 7E0E4507
	v_mul_f32_e32 v60, v60, v4                                 // 000000006F24: 0A78093C
	v_mul_f32_e32 v61, v61, v5                                 // 000000006F28: 0A7A0B3D
	v_mul_f32_e32 v62, v62, v6                                 // 000000006F2C: 0A7C0D3E
	v_mul_f32_e32 v63, v63, v7                                 // 000000006F30: 0A7E0F3F
	v_mul_f32_e32 v60, v60, v76                                // 000000006F34: 0A78993C
	v_mul_f32_e32 v61, v61, v77                                // 000000006F38: 0A7A9B3D
	v_mul_f32_e32 v62, v62, v78                                // 000000006F3C: 0A7C9D3E
	v_mul_f32_e32 v63, v63, v79                                // 000000006F40: 0A7E9F3F
	v_mul_f32_e64 v4, -v64, s6                                 // 000000006F44: D1050004 20000D40
	v_mul_f32_e64 v5, -v65, s6                                 // 000000006F4C: D1050005 20000D41
	v_mul_f32_e64 v6, -v66, s6                                 // 000000006F54: D1050006 20000D42
	v_mul_f32_e64 v7, -v67, s6                                 // 000000006F5C: D1050007 20000D43
	v_exp_f32_e32 v4, v4                                       // 000000006F64: 7E084104
	v_exp_f32_e32 v5, v5                                       // 000000006F68: 7E0A4105
	v_exp_f32_e32 v6, v6                                       // 000000006F6C: 7E0C4106
	v_exp_f32_e32 v7, v7                                       // 000000006F70: 7E0E4107
	v_add_f32_e64 v4, v4, 1.0                                  // 000000006F74: D1010004 0001E504
	v_add_f32_e64 v5, v5, 1.0                                  // 000000006F7C: D1010005 0001E505
	v_add_f32_e64 v6, v6, 1.0                                  // 000000006F84: D1010006 0001E506
	v_add_f32_e64 v7, v7, 1.0                                  // 000000006F8C: D1010007 0001E507
	v_rcp_f32_e32 v4, v4                                       // 000000006F94: 7E084504
	v_rcp_f32_e32 v5, v5                                       // 000000006F98: 7E0A4505
	v_rcp_f32_e32 v6, v6                                       // 000000006F9C: 7E0C4506
	v_rcp_f32_e32 v7, v7                                       // 000000006FA0: 7E0E4507
	v_mul_f32_e32 v64, v64, v4                                 // 000000006FA4: 0A800940
	v_mul_f32_e32 v65, v65, v5                                 // 000000006FA8: 0A820B41
	v_mul_f32_e32 v66, v66, v6                                 // 000000006FAC: 0A840D42
	v_mul_f32_e32 v67, v67, v7                                 // 000000006FB0: 0A860F43
	v_mul_f32_e32 v64, v64, v80                                // 000000006FB4: 0A80A140
	v_mul_f32_e32 v65, v65, v81                                // 000000006FB8: 0A82A341
	v_mul_f32_e32 v66, v66, v82                                // 000000006FBC: 0A84A542
	v_mul_f32_e32 v67, v67, v83                                // 000000006FC0: 0A86A743
	v_mul_f32_e64 v4, -v68, s6                                 // 000000006FC4: D1050004 20000D44
	v_mul_f32_e64 v5, -v69, s6                                 // 000000006FCC: D1050005 20000D45
	v_mul_f32_e64 v6, -v70, s6                                 // 000000006FD4: D1050006 20000D46
	v_mul_f32_e64 v7, -v71, s6                                 // 000000006FDC: D1050007 20000D47
	v_exp_f32_e32 v4, v4                                       // 000000006FE4: 7E084104
	v_exp_f32_e32 v5, v5                                       // 000000006FE8: 7E0A4105
	v_exp_f32_e32 v6, v6                                       // 000000006FEC: 7E0C4106
	v_exp_f32_e32 v7, v7                                       // 000000006FF0: 7E0E4107
	v_add_f32_e64 v4, v4, 1.0                                  // 000000006FF4: D1010004 0001E504
	v_add_f32_e64 v5, v5, 1.0                                  // 000000006FFC: D1010005 0001E505
	v_add_f32_e64 v6, v6, 1.0                                  // 000000007004: D1010006 0001E506
	v_add_f32_e64 v7, v7, 1.0                                  // 00000000700C: D1010007 0001E507
	v_rcp_f32_e32 v4, v4                                       // 000000007014: 7E084504
	v_rcp_f32_e32 v5, v5                                       // 000000007018: 7E0A4505
	v_rcp_f32_e32 v6, v6                                       // 00000000701C: 7E0C4506
	v_rcp_f32_e32 v7, v7                                       // 000000007020: 7E0E4507
	v_mul_f32_e32 v68, v68, v4                                 // 000000007024: 0A880944
	v_mul_f32_e32 v69, v69, v5                                 // 000000007028: 0A8A0B45
	v_mul_f32_e32 v70, v70, v6                                 // 00000000702C: 0A8C0D46
	v_mul_f32_e32 v71, v71, v7                                 // 000000007030: 0A8E0F47
	v_mul_f32_e32 v68, v68, v84                                // 000000007034: 0A88A944
	v_mul_f32_e32 v69, v69, v85                                // 000000007038: 0A8AAB45
	v_mul_f32_e32 v70, v70, v86                                // 00000000703C: 0A8CAD46
	v_mul_f32_e32 v71, v71, v87                                // 000000007040: 0A8EAF47

0000000000007044 <label_1194>:
	v_cmp_u_f32_e64 s[46:47], v56, v56                         // 000000007044: D048002E 00027138
	v_add3_u32 v16, v56, v19, 1                                // 00000000704C: D1FF0010 02062738
	v_cndmask_b32_e64 v4, v16, v18, s[46:47]                   // 000000007054: D1000004 00BA2510
	v_cmp_u_f32_e64 s[46:47], v57, v57                         // 00000000705C: D048002E 00027339
	v_add3_u32 v16, v57, v19, 1                                // 000000007064: D1FF0010 02062739
	v_cndmask_b32_e64 v5, v16, v18, s[46:47]                   // 00000000706C: D1000005 00BA2510
	v_perm_b32 v56, v5, v4, s52                                // 000000007074: D1ED0038 00D20905
	v_cmp_u_f32_e64 s[46:47], v58, v58                         // 00000000707C: D048002E 0002753A
	v_add3_u32 v16, v58, v19, 1                                // 000000007084: D1FF0010 0206273A
	v_cndmask_b32_e64 v4, v16, v18, s[46:47]                   // 00000000708C: D1000004 00BA2510
	v_cmp_u_f32_e64 s[46:47], v59, v59                         // 000000007094: D048002E 0002773B
	v_add3_u32 v16, v59, v19, 1                                // 00000000709C: D1FF0010 0206273B
	v_cndmask_b32_e64 v5, v16, v18, s[46:47]                   // 0000000070A4: D1000005 00BA2510
	v_perm_b32 v57, v5, v4, s52                                // 0000000070AC: D1ED0039 00D20905
	v_cmp_u_f32_e64 s[46:47], v60, v60                         // 0000000070B4: D048002E 0002793C
	v_add3_u32 v16, v60, v19, 1                                // 0000000070BC: D1FF0010 0206273C
	v_cndmask_b32_e64 v4, v16, v18, s[46:47]                   // 0000000070C4: D1000004 00BA2510
	v_cmp_u_f32_e64 s[46:47], v61, v61                         // 0000000070CC: D048002E 00027B3D
	v_add3_u32 v16, v61, v19, 1                                // 0000000070D4: D1FF0010 0206273D
	v_cndmask_b32_e64 v5, v16, v18, s[46:47]                   // 0000000070DC: D1000005 00BA2510
	v_perm_b32 v58, v5, v4, s52                                // 0000000070E4: D1ED003A 00D20905
	v_cmp_u_f32_e64 s[46:47], v62, v62                         // 0000000070EC: D048002E 00027D3E
	v_add3_u32 v16, v62, v19, 1                                // 0000000070F4: D1FF0010 0206273E
	v_cndmask_b32_e64 v4, v16, v18, s[46:47]                   // 0000000070FC: D1000004 00BA2510
	v_cmp_u_f32_e64 s[46:47], v63, v63                         // 000000007104: D048002E 00027F3F
	v_add3_u32 v16, v63, v19, 1                                // 00000000710C: D1FF0010 0206273F
	v_cndmask_b32_e64 v5, v16, v18, s[46:47]                   // 000000007114: D1000005 00BA2510
	v_perm_b32 v59, v5, v4, s52                                // 00000000711C: D1ED003B 00D20905
	v_cmp_u_f32_e64 s[46:47], v64, v64                         // 000000007124: D048002E 00028140
	v_add3_u32 v16, v64, v19, 1                                // 00000000712C: D1FF0010 02062740
	v_cndmask_b32_e64 v4, v16, v18, s[46:47]                   // 000000007134: D1000004 00BA2510
	v_cmp_u_f32_e64 s[46:47], v65, v65                         // 00000000713C: D048002E 00028341
	v_add3_u32 v16, v65, v19, 1                                // 000000007144: D1FF0010 02062741
	v_cndmask_b32_e64 v5, v16, v18, s[46:47]                   // 00000000714C: D1000005 00BA2510
	v_perm_b32 v60, v5, v4, s52                                // 000000007154: D1ED003C 00D20905
	v_cmp_u_f32_e64 s[46:47], v66, v66                         // 00000000715C: D048002E 00028542
	v_add3_u32 v16, v66, v19, 1                                // 000000007164: D1FF0010 02062742
	v_cndmask_b32_e64 v4, v16, v18, s[46:47]                   // 00000000716C: D1000004 00BA2510
	v_cmp_u_f32_e64 s[46:47], v67, v67                         // 000000007174: D048002E 00028743
	v_add3_u32 v16, v67, v19, 1                                // 00000000717C: D1FF0010 02062743
	v_cndmask_b32_e64 v5, v16, v18, s[46:47]                   // 000000007184: D1000005 00BA2510
	v_perm_b32 v61, v5, v4, s52                                // 00000000718C: D1ED003D 00D20905
	v_cmp_u_f32_e64 s[46:47], v68, v68                         // 000000007194: D048002E 00028944
	v_add3_u32 v16, v68, v19, 1                                // 00000000719C: D1FF0010 02062744
	v_cndmask_b32_e64 v4, v16, v18, s[46:47]                   // 0000000071A4: D1000004 00BA2510
	v_cmp_u_f32_e64 s[46:47], v69, v69                         // 0000000071AC: D048002E 00028B45
	v_add3_u32 v16, v69, v19, 1                                // 0000000071B4: D1FF0010 02062745
	v_cndmask_b32_e64 v5, v16, v18, s[46:47]                   // 0000000071BC: D1000005 00BA2510
	v_perm_b32 v62, v5, v4, s52                                // 0000000071C4: D1ED003E 00D20905
	v_cmp_u_f32_e64 s[46:47], v70, v70                         // 0000000071CC: D048002E 00028D46
	v_add3_u32 v16, v70, v19, 1                                // 0000000071D4: D1FF0010 02062746
	v_cndmask_b32_e64 v4, v16, v18, s[46:47]                   // 0000000071DC: D1000004 00BA2510
	v_cmp_u_f32_e64 s[46:47], v71, v71                         // 0000000071E4: D048002E 00028F47
	v_add3_u32 v16, v71, v19, 1                                // 0000000071EC: D1FF0010 02062747
	v_cndmask_b32_e64 v5, v16, v18, s[46:47]                   // 0000000071F4: D1000005 00BA2510
	v_perm_b32 v63, v5, v4, s52                                // 0000000071FC: D1ED003F 00D20905
	ds_write_b64 v20, v[56:57]                                 // 000000007204: D89A0000 00003814
	ds_write_b64 v20, v[58:59] offset:2176                     // 00000000720C: D89A0880 00003A14
	ds_write_b64 v20, v[60:61] offset:4352                     // 000000007214: D89A1100 00003C14
	ds_write_b64 v20, v[62:63] offset:6528                     // 00000000721C: D89A1980 00003E14
	v_lshrrev_b32_e32 v4, 5, v0                                // 000000007224: 20080085
	v_xor_b32_e32 v5, 1, v4                                    // 000000007228: 2A0A0881
	s_mul_i32 s60, s65, 2                                      // 00000000722C: 923C8241
	s_cmp_eq_u32 s88, 0                                        // 000000007230: BF068058
	s_cselect_b32 s61, 1, 4                                    // 000000007234: 853D8481
	s_mul_i32 s60, s61, s60                                    // 000000007238: 923C3C3D
	v_readlane_b32 s82, v3, 0                                  // 00000000723C: D2890052 00010103
	s_lshr_b32 s61, s82, 24                                    // 000000007244: 8F3D9852
	s_and_b32 s82, s82, 0xffffff                               // 000000007248: 8652FF52 00FFFFFF
	s_mul_i32 s82, s82, s71                                    // 000000007250: 92524752
	s_mul_i32 s61, s60, s61                                    // 000000007254: 923D3D3C
	s_add_u32 s82, s82, s61                                    // 000000007258: 80523D52
	v_mul_lo_u32 v6, v5, s82                                   // 00000000725C: D2850006 0000A505
	v_readlane_b32 s82, v3, 1                                  // 000000007264: D2890052 00010303
	s_lshr_b32 s61, s82, 24                                    // 00000000726C: 8F3D9852
	s_and_b32 s82, s82, 0xffffff                               // 000000007270: 8652FF52 00FFFFFF
	s_mul_i32 s82, s82, s71                                    // 000000007278: 92524752
	s_mul_i32 s61, s60, s61                                    // 00000000727C: 923D3D3C
	s_add_u32 s82, s82, s61                                    // 000000007280: 80523D52
	v_mul_lo_u32 v7, v4, s82                                   // 000000007284: D2850007 0000A504
	v_add_u32_e32 v46, v6, v7                                  // 00000000728C: 685C0F06
	v_readlane_b32 s82, v3, 2                                  // 000000007290: D2890052 00010503
	s_lshr_b32 s61, s82, 24                                    // 000000007298: 8F3D9852
	s_and_b32 s82, s82, 0xffffff                               // 00000000729C: 8652FF52 00FFFFFF
	s_mul_i32 s82, s82, s71                                    // 0000000072A4: 92524752
	s_mul_i32 s61, s60, s61                                    // 0000000072A8: 923D3D3C
	s_add_u32 s82, s82, s61                                    // 0000000072AC: 80523D52
	v_mul_lo_u32 v6, v5, s82                                   // 0000000072B0: D2850006 0000A505
	v_readlane_b32 s82, v3, 3                                  // 0000000072B8: D2890052 00010703
	s_lshr_b32 s61, s82, 24                                    // 0000000072C0: 8F3D9852
	s_and_b32 s82, s82, 0xffffff                               // 0000000072C4: 8652FF52 00FFFFFF
	s_mul_i32 s82, s82, s71                                    // 0000000072CC: 92524752
	s_mul_i32 s61, s60, s61                                    // 0000000072D0: 923D3D3C
	s_add_u32 s82, s82, s61                                    // 0000000072D4: 80523D52
	v_mul_lo_u32 v7, v4, s82                                   // 0000000072D8: D2850007 0000A504
	v_add_u32_e32 v47, v6, v7                                  // 0000000072E0: 685E0F06
	v_readlane_b32 s82, v3, 4                                  // 0000000072E4: D2890052 00010903
	s_lshr_b32 s61, s82, 24                                    // 0000000072EC: 8F3D9852
	s_and_b32 s82, s82, 0xffffff                               // 0000000072F0: 8652FF52 00FFFFFF
	s_mul_i32 s82, s82, s71                                    // 0000000072F8: 92524752
	s_mul_i32 s61, s60, s61                                    // 0000000072FC: 923D3D3C
	s_add_u32 s82, s82, s61                                    // 000000007300: 80523D52
	v_mul_lo_u32 v6, v5, s82                                   // 000000007304: D2850006 0000A505
	v_readlane_b32 s82, v3, 5                                  // 00000000730C: D2890052 00010B03
	s_lshr_b32 s61, s82, 24                                    // 000000007314: 8F3D9852
	s_and_b32 s82, s82, 0xffffff                               // 000000007318: 8652FF52 00FFFFFF
	s_mul_i32 s82, s82, s71                                    // 000000007320: 92524752
	s_mul_i32 s61, s60, s61                                    // 000000007324: 923D3D3C
	s_add_u32 s82, s82, s61                                    // 000000007328: 80523D52
	v_mul_lo_u32 v7, v4, s82                                   // 00000000732C: D2850007 0000A504
	v_add_u32_e32 v48, v6, v7                                  // 000000007334: 68600F06
	v_readlane_b32 s82, v3, 6                                  // 000000007338: D2890052 00010D03
	s_lshr_b32 s61, s82, 24                                    // 000000007340: 8F3D9852
	s_and_b32 s82, s82, 0xffffff                               // 000000007344: 8652FF52 00FFFFFF
	s_mul_i32 s82, s82, s71                                    // 00000000734C: 92524752
	s_mul_i32 s61, s60, s61                                    // 000000007350: 923D3D3C
	s_add_u32 s82, s82, s61                                    // 000000007354: 80523D52
	v_mul_lo_u32 v6, v5, s82                                   // 000000007358: D2850006 0000A505
	v_readlane_b32 s82, v3, 7                                  // 000000007360: D2890052 00010F03
	s_lshr_b32 s61, s82, 24                                    // 000000007368: 8F3D9852
	s_and_b32 s82, s82, 0xffffff                               // 00000000736C: 8652FF52 00FFFFFF
	s_mul_i32 s82, s82, s71                                    // 000000007374: 92524752
	s_mul_i32 s61, s60, s61                                    // 000000007378: 923D3D3C
	s_add_u32 s82, s82, s61                                    // 00000000737C: 80523D52
	v_mul_lo_u32 v7, v4, s82                                   // 000000007380: D2850007 0000A504
	v_add_u32_e32 v49, v6, v7                                  // 000000007388: 68620F06
	v_readlane_b32 s82, v3, 8                                  // 00000000738C: D2890052 00011103
	s_lshr_b32 s61, s82, 24                                    // 000000007394: 8F3D9852
	s_and_b32 s82, s82, 0xffffff                               // 000000007398: 8652FF52 00FFFFFF
	s_mul_i32 s82, s82, s71                                    // 0000000073A0: 92524752
	s_mul_i32 s61, s60, s61                                    // 0000000073A4: 923D3D3C
	s_add_u32 s82, s82, s61                                    // 0000000073A8: 80523D52
	v_mul_lo_u32 v6, v5, s82                                   // 0000000073AC: D2850006 0000A505
	v_readlane_b32 s82, v3, 9                                  // 0000000073B4: D2890052 00011303
	s_lshr_b32 s61, s82, 24                                    // 0000000073BC: 8F3D9852
	s_and_b32 s82, s82, 0xffffff                               // 0000000073C0: 8652FF52 00FFFFFF
	s_mul_i32 s82, s82, s71                                    // 0000000073C8: 92524752
	s_mul_i32 s61, s60, s61                                    // 0000000073CC: 923D3D3C
	s_add_u32 s82, s82, s61                                    // 0000000073D0: 80523D52
	v_mul_lo_u32 v7, v4, s82                                   // 0000000073D4: D2850007 0000A504
	v_add_u32_e32 v50, v6, v7                                  // 0000000073DC: 68640F06
	v_readlane_b32 s82, v3, 10                                 // 0000000073E0: D2890052 00011503
	s_lshr_b32 s61, s82, 24                                    // 0000000073E8: 8F3D9852
	s_and_b32 s82, s82, 0xffffff                               // 0000000073EC: 8652FF52 00FFFFFF
	s_mul_i32 s82, s82, s71                                    // 0000000073F4: 92524752
	s_mul_i32 s61, s60, s61                                    // 0000000073F8: 923D3D3C
	s_add_u32 s82, s82, s61                                    // 0000000073FC: 80523D52
	v_mul_lo_u32 v6, v5, s82                                   // 000000007400: D2850006 0000A505
	v_readlane_b32 s82, v3, 11                                 // 000000007408: D2890052 00011703
	s_lshr_b32 s61, s82, 24                                    // 000000007410: 8F3D9852
	s_and_b32 s82, s82, 0xffffff                               // 000000007414: 8652FF52 00FFFFFF
	s_mul_i32 s82, s82, s71                                    // 00000000741C: 92524752
	s_mul_i32 s61, s60, s61                                    // 000000007420: 923D3D3C
	s_add_u32 s82, s82, s61                                    // 000000007424: 80523D52
	v_mul_lo_u32 v7, v4, s82                                   // 000000007428: D2850007 0000A504
	v_add_u32_e32 v51, v6, v7                                  // 000000007430: 68660F06
	v_readlane_b32 s82, v3, 12                                 // 000000007434: D2890052 00011903
	s_lshr_b32 s61, s82, 24                                    // 00000000743C: 8F3D9852
	s_and_b32 s82, s82, 0xffffff                               // 000000007440: 8652FF52 00FFFFFF
	s_mul_i32 s82, s82, s71                                    // 000000007448: 92524752
	s_mul_i32 s61, s60, s61                                    // 00000000744C: 923D3D3C
	s_add_u32 s82, s82, s61                                    // 000000007450: 80523D52
	v_mul_lo_u32 v6, v5, s82                                   // 000000007454: D2850006 0000A505
	v_readlane_b32 s82, v3, 13                                 // 00000000745C: D2890052 00011B03
	s_lshr_b32 s61, s82, 24                                    // 000000007464: 8F3D9852
	s_and_b32 s82, s82, 0xffffff                               // 000000007468: 8652FF52 00FFFFFF
	s_mul_i32 s82, s82, s71                                    // 000000007470: 92524752
	s_mul_i32 s61, s60, s61                                    // 000000007474: 923D3D3C
	s_add_u32 s82, s82, s61                                    // 000000007478: 80523D52
	v_mul_lo_u32 v7, v4, s82                                   // 00000000747C: D2850007 0000A504
	v_add_u32_e32 v52, v6, v7                                  // 000000007484: 68680F06
	v_readlane_b32 s82, v3, 14                                 // 000000007488: D2890052 00011D03
	s_lshr_b32 s61, s82, 24                                    // 000000007490: 8F3D9852
	s_and_b32 s82, s82, 0xffffff                               // 000000007494: 8652FF52 00FFFFFF
	s_mul_i32 s82, s82, s71                                    // 00000000749C: 92524752
	s_mul_i32 s61, s60, s61                                    // 0000000074A0: 923D3D3C
	s_add_u32 s82, s82, s61                                    // 0000000074A4: 80523D52
	v_mul_lo_u32 v6, v5, s82                                   // 0000000074A8: D2850006 0000A505
	v_readlane_b32 s82, v3, 15                                 // 0000000074B0: D2890052 00011F03
	s_lshr_b32 s61, s82, 24                                    // 0000000074B8: 8F3D9852
	s_and_b32 s82, s82, 0xffffff                               // 0000000074BC: 8652FF52 00FFFFFF
	s_mul_i32 s82, s82, s71                                    // 0000000074C4: 92524752
	s_mul_i32 s61, s60, s61                                    // 0000000074C8: 923D3D3C
	s_add_u32 s82, s82, s61                                    // 0000000074CC: 80523D52
	v_mul_lo_u32 v7, v4, s82                                   // 0000000074D0: D2850007 0000A504
	v_add_u32_e32 v53, v6, v7                                  // 0000000074D8: 686A0F06
	v_and_b32_e32 v4, 31, v0                                   // 0000000074DC: 2608009F
	v_lshrrev_b32_e32 v4, 1, v4                                // 0000000074E0: 20080881
	s_cmp_eq_u32 s88, 0                                        // 0000000074E4: BF068058
	s_cselect_b32 s61, 2, 4                                    // 0000000074E8: 853D8482
	v_mul_lo_u32 v4, v4, s61                                   // 0000000074EC: D2850004 00007B04
	v_and_b32_e64 v5, v0, 1                                    // 0000000074F4: D1130005 00010300
	v_add_u32_e32 v4, v4, v5                                   // 0000000074FC: 68080B04
	v_lshlrev_b32_e32 v4, 2, v4                                // 000000007500: 24080882
	v_add_u32_e32 v46, v46, v4                                 // 000000007504: 685C092E
	v_add_u32_e32 v47, v47, v4                                 // 000000007508: 685E092F
	v_add_u32_e32 v48, v48, v4                                 // 00000000750C: 68600930
	v_add_u32_e32 v49, v49, v4                                 // 000000007510: 68620931
	v_add_u32_e32 v50, v50, v4                                 // 000000007514: 68640932
	;; [unrolled: 1-line block ×3, first 2 shown]
	v_add_u32_e32 v52, v52, v4                                 // 00000000751C: 68680934
	v_add_u32_e32 v53, v53, v4                                 // 000000007520: 686A0935
	s_waitcnt lgkmcnt(0)                                       // 000000007524: BF8CC07F
	s_barrier                                                  // 000000007528: BF8A0000
	ds_read_b32 v56, v21                                       // 00000000752C: D86C0000 38000015
	ds_read_b32 v57, v21 offset:64                             // 000000007534: D86C0040 39000015
	ds_read_b32 v58, v21 offset:2176                           // 00000000753C: D86C0880 3A000015
	ds_read_b32 v59, v21 offset:2240                           // 000000007544: D86C08C0 3B000015
	ds_read_b32 v60, v21 offset:4352                           // 00000000754C: D86C1100 3C000015
	ds_read_b32 v61, v21 offset:4416                           // 000000007554: D86C1140 3D000015
	ds_read_b32 v62, v21 offset:6528                           // 00000000755C: D86C1980 3E000015
	ds_read_b32 v63, v21 offset:6592                           // 000000007564: D86C19C0 3F000015
	s_waitcnt lgkmcnt(0)                                       // 00000000756C: BF8CC07F
	s_mov_b32 s36, -1                                          // 000000007570: BEA400C1
	s_mov_b32 s37, -1                                          // 000000007574: BEA500C1
	v_mov_b32_e32 v7, 0                                        // 000000007578: 7E0E0280
	s_or_b32 s9, s9, 0x40000                                   // 00000000757C: 8709FF09 00040000
	s_mov_b64 exec, s[36:37]                                   // 000000007584: BEFE0124
	v_mov_b32_e32 v6, v46                                      // 000000007588: 7E0C032E
	s_mov_b64 s[60:61], 0                                      // 00000000758C: BEBC0180
	v_readlane_b32 s82, v3, 0                                  // 000000007590: D2890052 00010103
	s_and_b32 s82, s82, 0xffffff                               // 000000007598: 8652FF52 00FFFFFF
	s_cmp_lt_u32 s82, s66                                      // 0000000075A0: BF0A4252
	s_cselect_b32 s20, s36, s60                                // 0000000075A4: 85143C24
	v_readlane_b32 s82, v3, 1                                  // 0000000075A8: D2890052 00010303
	s_and_b32 s82, s82, 0xffffff                               // 0000000075B0: 8652FF52 00FFFFFF
	s_cmp_lt_u32 s82, s66                                      // 0000000075B8: BF0A4252
	s_cselect_b32 s21, s36, s60                                // 0000000075BC: 85153C24
	s_mov_b64 exec, s[20:21]                                   // 0000000075C0: BEFE0114
	buffer_store_dword v56, v6, s[8:11], 0 offen               // 0000000075C4: E0701000 80023806
	s_mov_b64 exec, s[36:37]                                   // 0000000075CC: BEFE0124
	v_mov_b32_e32 v6, v47                                      // 0000000075D0: 7E0C032F
	s_mov_b64 s[60:61], 0                                      // 0000000075D4: BEBC0180
	v_readlane_b32 s82, v3, 2                                  // 0000000075D8: D2890052 00010503
	s_and_b32 s82, s82, 0xffffff                               // 0000000075E0: 8652FF52 00FFFFFF
	s_cmp_lt_u32 s82, s66                                      // 0000000075E8: BF0A4252
	s_cselect_b32 s20, s36, s60                                // 0000000075EC: 85143C24
	v_readlane_b32 s82, v3, 3                                  // 0000000075F0: D2890052 00010703
	s_and_b32 s82, s82, 0xffffff                               // 0000000075F8: 8652FF52 00FFFFFF
	s_cmp_lt_u32 s82, s66                                      // 000000007600: BF0A4252
	s_cselect_b32 s21, s36, s60                                // 000000007604: 85153C24
	s_mov_b64 exec, s[20:21]                                   // 000000007608: BEFE0114
	buffer_store_dword v57, v6, s[8:11], 0 offen               // 00000000760C: E0701000 80023906
	s_mov_b64 exec, s[36:37]                                   // 000000007614: BEFE0124
	v_mov_b32_e32 v6, v48                                      // 000000007618: 7E0C0330
	s_mov_b64 s[60:61], 0                                      // 00000000761C: BEBC0180
	v_readlane_b32 s82, v3, 4                                  // 000000007620: D2890052 00010903
	s_and_b32 s82, s82, 0xffffff                               // 000000007628: 8652FF52 00FFFFFF
	s_cmp_lt_u32 s82, s66                                      // 000000007630: BF0A4252
	s_cselect_b32 s20, s36, s60                                // 000000007634: 85143C24
	v_readlane_b32 s82, v3, 5                                  // 000000007638: D2890052 00010B03
	s_and_b32 s82, s82, 0xffffff                               // 000000007640: 8652FF52 00FFFFFF
	s_cmp_lt_u32 s82, s66                                      // 000000007648: BF0A4252
	s_cselect_b32 s21, s36, s60                                // 00000000764C: 85153C24
	s_mov_b64 exec, s[20:21]                                   // 000000007650: BEFE0114
	buffer_store_dword v58, v6, s[8:11], 0 offen               // 000000007654: E0701000 80023A06
	s_mov_b64 exec, s[36:37]                                   // 00000000765C: BEFE0124
	v_mov_b32_e32 v6, v49                                      // 000000007660: 7E0C0331
	s_mov_b64 s[60:61], 0                                      // 000000007664: BEBC0180
	v_readlane_b32 s82, v3, 6                                  // 000000007668: D2890052 00010D03
	s_and_b32 s82, s82, 0xffffff                               // 000000007670: 8652FF52 00FFFFFF
	s_cmp_lt_u32 s82, s66                                      // 000000007678: BF0A4252
	s_cselect_b32 s20, s36, s60                                // 00000000767C: 85143C24
	v_readlane_b32 s82, v3, 7                                  // 000000007680: D2890052 00010F03
	s_and_b32 s82, s82, 0xffffff                               // 000000007688: 8652FF52 00FFFFFF
	s_cmp_lt_u32 s82, s66                                      // 000000007690: BF0A4252
	s_cselect_b32 s21, s36, s60                                // 000000007694: 85153C24
	s_mov_b64 exec, s[20:21]                                   // 000000007698: BEFE0114
	buffer_store_dword v59, v6, s[8:11], 0 offen               // 00000000769C: E0701000 80023B06
	s_mov_b64 exec, s[36:37]                                   // 0000000076A4: BEFE0124
	v_mov_b32_e32 v6, v50                                      // 0000000076A8: 7E0C0332
	s_mov_b64 s[60:61], 0                                      // 0000000076AC: BEBC0180
	v_readlane_b32 s82, v3, 8                                  // 0000000076B0: D2890052 00011103
	s_and_b32 s82, s82, 0xffffff                               // 0000000076B8: 8652FF52 00FFFFFF
	s_cmp_lt_u32 s82, s66                                      // 0000000076C0: BF0A4252
	s_cselect_b32 s20, s36, s60                                // 0000000076C4: 85143C24
	v_readlane_b32 s82, v3, 9                                  // 0000000076C8: D2890052 00011303
	s_and_b32 s82, s82, 0xffffff                               // 0000000076D0: 8652FF52 00FFFFFF
	s_cmp_lt_u32 s82, s66                                      // 0000000076D8: BF0A4252
	s_cselect_b32 s21, s36, s60                                // 0000000076DC: 85153C24
	s_mov_b64 exec, s[20:21]                                   // 0000000076E0: BEFE0114
	buffer_store_dword v60, v6, s[8:11], 0 offen               // 0000000076E4: E0701000 80023C06
	s_mov_b64 exec, s[36:37]                                   // 0000000076EC: BEFE0124
	v_mov_b32_e32 v6, v51                                      // 0000000076F0: 7E0C0333
	s_mov_b64 s[60:61], 0                                      // 0000000076F4: BEBC0180
	v_readlane_b32 s82, v3, 10                                 // 0000000076F8: D2890052 00011503
	s_and_b32 s82, s82, 0xffffff                               // 000000007700: 8652FF52 00FFFFFF
	s_cmp_lt_u32 s82, s66                                      // 000000007708: BF0A4252
	s_cselect_b32 s20, s36, s60                                // 00000000770C: 85143C24
	v_readlane_b32 s82, v3, 11                                 // 000000007710: D2890052 00011703
	s_and_b32 s82, s82, 0xffffff                               // 000000007718: 8652FF52 00FFFFFF
	s_cmp_lt_u32 s82, s66                                      // 000000007720: BF0A4252
	s_cselect_b32 s21, s36, s60                                // 000000007724: 85153C24
	s_mov_b64 exec, s[20:21]                                   // 000000007728: BEFE0114
	buffer_store_dword v61, v6, s[8:11], 0 offen               // 00000000772C: E0701000 80023D06
	s_mov_b64 exec, s[36:37]                                   // 000000007734: BEFE0124
	v_mov_b32_e32 v6, v52                                      // 000000007738: 7E0C0334
	s_mov_b64 s[60:61], 0                                      // 00000000773C: BEBC0180
	v_readlane_b32 s82, v3, 12                                 // 000000007740: D2890052 00011903
	s_and_b32 s82, s82, 0xffffff                               // 000000007748: 8652FF52 00FFFFFF
	s_cmp_lt_u32 s82, s66                                      // 000000007750: BF0A4252
	s_cselect_b32 s20, s36, s60                                // 000000007754: 85143C24
	v_readlane_b32 s82, v3, 13                                 // 000000007758: D2890052 00011B03
	s_and_b32 s82, s82, 0xffffff                               // 000000007760: 8652FF52 00FFFFFF
	s_cmp_lt_u32 s82, s66                                      // 000000007768: BF0A4252
	s_cselect_b32 s21, s36, s60                                // 00000000776C: 85153C24
	s_mov_b64 exec, s[20:21]                                   // 000000007770: BEFE0114
	buffer_store_dword v62, v6, s[8:11], 0 offen               // 000000007774: E0701000 80023E06
	s_mov_b64 exec, s[36:37]                                   // 00000000777C: BEFE0124
	v_mov_b32_e32 v6, v53                                      // 000000007780: 7E0C0335
	s_mov_b64 s[60:61], 0                                      // 000000007784: BEBC0180
	v_readlane_b32 s82, v3, 14                                 // 000000007788: D2890052 00011D03
	s_and_b32 s82, s82, 0xffffff                               // 000000007790: 8652FF52 00FFFFFF
	s_cmp_lt_u32 s82, s66                                      // 000000007798: BF0A4252
	s_cselect_b32 s20, s36, s60                                // 00000000779C: 85143C24
	v_readlane_b32 s82, v3, 15                                 // 0000000077A0: D2890052 00011F03
	s_and_b32 s82, s82, 0xffffff                               // 0000000077A8: 8652FF52 00FFFFFF
	s_cmp_lt_u32 s82, s66                                      // 0000000077B0: BF0A4252
	s_cselect_b32 s21, s36, s60                                // 0000000077B4: 85153C24
	s_mov_b64 exec, s[20:21]                                   // 0000000077B8: BEFE0114
	buffer_store_dword v63, v6, s[8:11], 0 offen               // 0000000077BC: E0701000 80023F06
	s_mov_b64 exec, s[36:37]                                   // 0000000077C4: BEFE0124
	s_branch label_16F0                                        // 0000000077C8: BF82037A

00000000000077cc <label_1376>:
	ds_write_b64 v20, v[56:57]                                 // 0000000077CC: D89A0000 00003814
	ds_write_b64 v20, v[60:61] offset:2176                     // 0000000077D4: D89A0880 00003C14
	ds_write_b64 v20, v[64:65] offset:4352                     // 0000000077DC: D89A1100 00004014
	ds_write_b64 v20, v[68:69] offset:6528                     // 0000000077E4: D89A1980 00004414
	v_lshrrev_b32_e32 v4, 5, v0                                // 0000000077EC: 20080085
	v_xor_b32_e32 v5, 1, v4                                    // 0000000077F0: 2A0A0881
	s_mul_i32 s60, s65, 2                                      // 0000000077F4: 923C8241
	s_cmp_eq_u32 s88, 0                                        // 0000000077F8: BF068058
	s_cselect_b32 s61, 1, 4                                    // 0000000077FC: 853D8481
	s_mul_i32 s60, s61, s60                                    // 000000007800: 923C3C3D
	v_readlane_b32 s82, v3, 0                                  // 000000007804: D2890052 00010103
	s_lshr_b32 s61, s82, 24                                    // 00000000780C: 8F3D9852
	s_and_b32 s82, s82, 0xffffff                               // 000000007810: 8652FF52 00FFFFFF
	s_mul_i32 s82, s82, s71                                    // 000000007818: 92524752
	s_mul_i32 s61, s60, s61                                    // 00000000781C: 923D3D3C
	s_add_u32 s82, s82, s61                                    // 000000007820: 80523D52
	v_mul_lo_u32 v6, v5, s82                                   // 000000007824: D2850006 0000A505
	v_readlane_b32 s82, v3, 1                                  // 00000000782C: D2890052 00010303
	s_lshr_b32 s61, s82, 24                                    // 000000007834: 8F3D9852
	s_and_b32 s82, s82, 0xffffff                               // 000000007838: 8652FF52 00FFFFFF
	s_mul_i32 s82, s82, s71                                    // 000000007840: 92524752
	s_mul_i32 s61, s60, s61                                    // 000000007844: 923D3D3C
	s_add_u32 s82, s82, s61                                    // 000000007848: 80523D52
	v_mul_lo_u32 v7, v4, s82                                   // 00000000784C: D2850007 0000A504
	v_add_u32_e32 v46, v6, v7                                  // 000000007854: 685C0F06
	v_readlane_b32 s82, v3, 2                                  // 000000007858: D2890052 00010503
	s_lshr_b32 s61, s82, 24                                    // 000000007860: 8F3D9852
	s_and_b32 s82, s82, 0xffffff                               // 000000007864: 8652FF52 00FFFFFF
	s_mul_i32 s82, s82, s71                                    // 00000000786C: 92524752
	s_mul_i32 s61, s60, s61                                    // 000000007870: 923D3D3C
	s_add_u32 s82, s82, s61                                    // 000000007874: 80523D52
	v_mul_lo_u32 v6, v5, s82                                   // 000000007878: D2850006 0000A505
	v_readlane_b32 s82, v3, 3                                  // 000000007880: D2890052 00010703
	s_lshr_b32 s61, s82, 24                                    // 000000007888: 8F3D9852
	s_and_b32 s82, s82, 0xffffff                               // 00000000788C: 8652FF52 00FFFFFF
	s_mul_i32 s82, s82, s71                                    // 000000007894: 92524752
	s_mul_i32 s61, s60, s61                                    // 000000007898: 923D3D3C
	s_add_u32 s82, s82, s61                                    // 00000000789C: 80523D52
	v_mul_lo_u32 v7, v4, s82                                   // 0000000078A0: D2850007 0000A504
	v_add_u32_e32 v47, v6, v7                                  // 0000000078A8: 685E0F06
	v_readlane_b32 s82, v3, 4                                  // 0000000078AC: D2890052 00010903
	s_lshr_b32 s61, s82, 24                                    // 0000000078B4: 8F3D9852
	s_and_b32 s82, s82, 0xffffff                               // 0000000078B8: 8652FF52 00FFFFFF
	s_mul_i32 s82, s82, s71                                    // 0000000078C0: 92524752
	s_mul_i32 s61, s60, s61                                    // 0000000078C4: 923D3D3C
	s_add_u32 s82, s82, s61                                    // 0000000078C8: 80523D52
	v_mul_lo_u32 v6, v5, s82                                   // 0000000078CC: D2850006 0000A505
	v_readlane_b32 s82, v3, 5                                  // 0000000078D4: D2890052 00010B03
	s_lshr_b32 s61, s82, 24                                    // 0000000078DC: 8F3D9852
	s_and_b32 s82, s82, 0xffffff                               // 0000000078E0: 8652FF52 00FFFFFF
	s_mul_i32 s82, s82, s71                                    // 0000000078E8: 92524752
	s_mul_i32 s61, s60, s61                                    // 0000000078EC: 923D3D3C
	s_add_u32 s82, s82, s61                                    // 0000000078F0: 80523D52
	v_mul_lo_u32 v7, v4, s82                                   // 0000000078F4: D2850007 0000A504
	v_add_u32_e32 v48, v6, v7                                  // 0000000078FC: 68600F06
	v_readlane_b32 s82, v3, 6                                  // 000000007900: D2890052 00010D03
	s_lshr_b32 s61, s82, 24                                    // 000000007908: 8F3D9852
	s_and_b32 s82, s82, 0xffffff                               // 00000000790C: 8652FF52 00FFFFFF
	s_mul_i32 s82, s82, s71                                    // 000000007914: 92524752
	s_mul_i32 s61, s60, s61                                    // 000000007918: 923D3D3C
	s_add_u32 s82, s82, s61                                    // 00000000791C: 80523D52
	v_mul_lo_u32 v6, v5, s82                                   // 000000007920: D2850006 0000A505
	v_readlane_b32 s82, v3, 7                                  // 000000007928: D2890052 00010F03
	s_lshr_b32 s61, s82, 24                                    // 000000007930: 8F3D9852
	s_and_b32 s82, s82, 0xffffff                               // 000000007934: 8652FF52 00FFFFFF
	s_mul_i32 s82, s82, s71                                    // 00000000793C: 92524752
	s_mul_i32 s61, s60, s61                                    // 000000007940: 923D3D3C
	s_add_u32 s82, s82, s61                                    // 000000007944: 80523D52
	v_mul_lo_u32 v7, v4, s82                                   // 000000007948: D2850007 0000A504
	v_add_u32_e32 v49, v6, v7                                  // 000000007950: 68620F06
	v_readlane_b32 s82, v3, 8                                  // 000000007954: D2890052 00011103
	s_lshr_b32 s61, s82, 24                                    // 00000000795C: 8F3D9852
	s_and_b32 s82, s82, 0xffffff                               // 000000007960: 8652FF52 00FFFFFF
	s_mul_i32 s82, s82, s71                                    // 000000007968: 92524752
	s_mul_i32 s61, s60, s61                                    // 00000000796C: 923D3D3C
	s_add_u32 s82, s82, s61                                    // 000000007970: 80523D52
	v_mul_lo_u32 v6, v5, s82                                   // 000000007974: D2850006 0000A505
	v_readlane_b32 s82, v3, 9                                  // 00000000797C: D2890052 00011303
	s_lshr_b32 s61, s82, 24                                    // 000000007984: 8F3D9852
	s_and_b32 s82, s82, 0xffffff                               // 000000007988: 8652FF52 00FFFFFF
	s_mul_i32 s82, s82, s71                                    // 000000007990: 92524752
	s_mul_i32 s61, s60, s61                                    // 000000007994: 923D3D3C
	s_add_u32 s82, s82, s61                                    // 000000007998: 80523D52
	v_mul_lo_u32 v7, v4, s82                                   // 00000000799C: D2850007 0000A504
	v_add_u32_e32 v50, v6, v7                                  // 0000000079A4: 68640F06
	v_readlane_b32 s82, v3, 10                                 // 0000000079A8: D2890052 00011503
	s_lshr_b32 s61, s82, 24                                    // 0000000079B0: 8F3D9852
	s_and_b32 s82, s82, 0xffffff                               // 0000000079B4: 8652FF52 00FFFFFF
	s_mul_i32 s82, s82, s71                                    // 0000000079BC: 92524752
	s_mul_i32 s61, s60, s61                                    // 0000000079C0: 923D3D3C
	s_add_u32 s82, s82, s61                                    // 0000000079C4: 80523D52
	v_mul_lo_u32 v6, v5, s82                                   // 0000000079C8: D2850006 0000A505
	v_readlane_b32 s82, v3, 11                                 // 0000000079D0: D2890052 00011703
	s_lshr_b32 s61, s82, 24                                    // 0000000079D8: 8F3D9852
	s_and_b32 s82, s82, 0xffffff                               // 0000000079DC: 8652FF52 00FFFFFF
	s_mul_i32 s82, s82, s71                                    // 0000000079E4: 92524752
	s_mul_i32 s61, s60, s61                                    // 0000000079E8: 923D3D3C
	s_add_u32 s82, s82, s61                                    // 0000000079EC: 80523D52
	v_mul_lo_u32 v7, v4, s82                                   // 0000000079F0: D2850007 0000A504
	v_add_u32_e32 v51, v6, v7                                  // 0000000079F8: 68660F06
	v_readlane_b32 s82, v3, 12                                 // 0000000079FC: D2890052 00011903
	s_lshr_b32 s61, s82, 24                                    // 000000007A04: 8F3D9852
	s_and_b32 s82, s82, 0xffffff                               // 000000007A08: 8652FF52 00FFFFFF
	s_mul_i32 s82, s82, s71                                    // 000000007A10: 92524752
	s_mul_i32 s61, s60, s61                                    // 000000007A14: 923D3D3C
	s_add_u32 s82, s82, s61                                    // 000000007A18: 80523D52
	v_mul_lo_u32 v6, v5, s82                                   // 000000007A1C: D2850006 0000A505
	v_readlane_b32 s82, v3, 13                                 // 000000007A24: D2890052 00011B03
	s_lshr_b32 s61, s82, 24                                    // 000000007A2C: 8F3D9852
	s_and_b32 s82, s82, 0xffffff                               // 000000007A30: 8652FF52 00FFFFFF
	s_mul_i32 s82, s82, s71                                    // 000000007A38: 92524752
	s_mul_i32 s61, s60, s61                                    // 000000007A3C: 923D3D3C
	s_add_u32 s82, s82, s61                                    // 000000007A40: 80523D52
	v_mul_lo_u32 v7, v4, s82                                   // 000000007A44: D2850007 0000A504
	v_add_u32_e32 v52, v6, v7                                  // 000000007A4C: 68680F06
	v_readlane_b32 s82, v3, 14                                 // 000000007A50: D2890052 00011D03
	s_lshr_b32 s61, s82, 24                                    // 000000007A58: 8F3D9852
	s_and_b32 s82, s82, 0xffffff                               // 000000007A5C: 8652FF52 00FFFFFF
	s_mul_i32 s82, s82, s71                                    // 000000007A64: 92524752
	s_mul_i32 s61, s60, s61                                    // 000000007A68: 923D3D3C
	s_add_u32 s82, s82, s61                                    // 000000007A6C: 80523D52
	v_mul_lo_u32 v6, v5, s82                                   // 000000007A70: D2850006 0000A505
	v_readlane_b32 s82, v3, 15                                 // 000000007A78: D2890052 00011F03
	s_lshr_b32 s61, s82, 24                                    // 000000007A80: 8F3D9852
	s_and_b32 s82, s82, 0xffffff                               // 000000007A84: 8652FF52 00FFFFFF
	s_mul_i32 s82, s82, s71                                    // 000000007A8C: 92524752
	s_mul_i32 s61, s60, s61                                    // 000000007A90: 923D3D3C
	s_add_u32 s82, s82, s61                                    // 000000007A94: 80523D52
	v_mul_lo_u32 v7, v4, s82                                   // 000000007A98: D2850007 0000A504
	v_add_u32_e32 v53, v6, v7                                  // 000000007AA0: 686A0F06
	v_and_b32_e32 v4, 31, v0                                   // 000000007AA4: 2608009F
	v_lshrrev_b32_e32 v4, 1, v4                                // 000000007AA8: 20080881
	s_cmp_eq_u32 s88, 0                                        // 000000007AAC: BF068058
	s_cselect_b32 s61, 2, 4                                    // 000000007AB0: 853D8482
	v_mul_lo_u32 v4, v4, s61                                   // 000000007AB4: D2850004 00007B04
	v_and_b32_e64 v5, v0, 1                                    // 000000007ABC: D1130005 00010300
	v_add_u32_e32 v4, v4, v5                                   // 000000007AC4: 68080B04
	v_lshlrev_b32_e32 v4, 2, v4                                // 000000007AC8: 24080882
	v_add_u32_e32 v46, v46, v4                                 // 000000007ACC: 685C092E
	v_add_u32_e32 v47, v47, v4                                 // 000000007AD0: 685E092F
	v_add_u32_e32 v48, v48, v4                                 // 000000007AD4: 68600930
	v_add_u32_e32 v49, v49, v4                                 // 000000007AD8: 68620931
	v_add_u32_e32 v50, v50, v4                                 // 000000007ADC: 68640932
	v_add_u32_e32 v51, v51, v4                                 // 000000007AE0: 68660933
	v_add_u32_e32 v52, v52, v4                                 // 000000007AE4: 68680934
	v_add_u32_e32 v53, v53, v4                                 // 000000007AE8: 686A0935
	s_waitcnt lgkmcnt(0)                                       // 000000007AEC: BF8CC07F
	s_barrier                                                  // 000000007AF0: BF8A0000
	ds_read_b32 v56, v21                                       // 000000007AF4: D86C0000 38000015
	ds_read_b32 v57, v21 offset:64                             // 000000007AFC: D86C0040 39000015
	ds_read_b32 v60, v21 offset:2176                           // 000000007B04: D86C0880 3C000015
	ds_read_b32 v61, v21 offset:2240                           // 000000007B0C: D86C08C0 3D000015
	ds_read_b32 v64, v21 offset:4352                           // 000000007B14: D86C1100 40000015
	ds_read_b32 v65, v21 offset:4416                           // 000000007B1C: D86C1140 41000015
	ds_read_b32 v68, v21 offset:6528                           // 000000007B24: D86C1980 44000015
	ds_read_b32 v69, v21 offset:6592                           // 000000007B2C: D86C19C0 45000015
	s_waitcnt lgkmcnt(0)                                       // 000000007B34: BF8CC07F
	s_mov_b32 s36, -1                                          // 000000007B38: BEA400C1
	s_mov_b32 s37, -1                                          // 000000007B3C: BEA500C1
	v_mov_b32_e32 v7, 0                                        // 000000007B40: 7E0E0280
	s_mov_b64 exec, s[36:37]                                   // 000000007B44: BEFE0124
	v_mov_b32_e32 v6, v46                                      // 000000007B48: 7E0C032E
	s_mov_b64 s[60:61], 0                                      // 000000007B4C: BEBC0180
	v_readlane_b32 s82, v3, 0                                  // 000000007B50: D2890052 00010103
	s_and_b32 s82, s82, 0xffffff                               // 000000007B58: 8652FF52 00FFFFFF
	s_cmp_lt_u32 s82, s66                                      // 000000007B60: BF0A4252
	s_cselect_b32 s20, s36, s60                                // 000000007B64: 85143C24
	v_readlane_b32 s82, v3, 1                                  // 000000007B68: D2890052 00010303
	s_and_b32 s82, s82, 0xffffff                               // 000000007B70: 8652FF52 00FFFFFF
	s_cmp_lt_u32 s82, s66                                      // 000000007B78: BF0A4252
	s_cselect_b32 s21, s36, s60                                // 000000007B7C: 85153C24
	s_mov_b64 exec, s[20:21]                                   // 000000007B80: BEFE0114
	global_atomic_add_f32 v6, v56, s[8:9]                      // 000000007B84: DD348000 00083806
	s_mov_b64 exec, s[36:37]                                   // 000000007B8C: BEFE0124
	v_mov_b32_e32 v6, v47                                      // 000000007B90: 7E0C032F
	s_mov_b64 s[60:61], 0                                      // 000000007B94: BEBC0180
	v_readlane_b32 s82, v3, 2                                  // 000000007B98: D2890052 00010503
	s_and_b32 s82, s82, 0xffffff                               // 000000007BA0: 8652FF52 00FFFFFF
	s_cmp_lt_u32 s82, s66                                      // 000000007BA8: BF0A4252
	s_cselect_b32 s20, s36, s60                                // 000000007BAC: 85143C24
	v_readlane_b32 s82, v3, 3                                  // 000000007BB0: D2890052 00010703
	s_and_b32 s82, s82, 0xffffff                               // 000000007BB8: 8652FF52 00FFFFFF
	s_cmp_lt_u32 s82, s66                                      // 000000007BC0: BF0A4252
	s_cselect_b32 s21, s36, s60                                // 000000007BC4: 85153C24
	s_mov_b64 exec, s[20:21]                                   // 000000007BC8: BEFE0114
	global_atomic_add_f32 v6, v57, s[8:9]                      // 000000007BCC: DD348000 00083906
	s_mov_b64 exec, s[36:37]                                   // 000000007BD4: BEFE0124
	v_mov_b32_e32 v6, v48                                      // 000000007BD8: 7E0C0330
	s_mov_b64 s[60:61], 0                                      // 000000007BDC: BEBC0180
	v_readlane_b32 s82, v3, 4                                  // 000000007BE0: D2890052 00010903
	s_and_b32 s82, s82, 0xffffff                               // 000000007BE8: 8652FF52 00FFFFFF
	s_cmp_lt_u32 s82, s66                                      // 000000007BF0: BF0A4252
	s_cselect_b32 s20, s36, s60                                // 000000007BF4: 85143C24
	v_readlane_b32 s82, v3, 5                                  // 000000007BF8: D2890052 00010B03
	s_and_b32 s82, s82, 0xffffff                               // 000000007C00: 8652FF52 00FFFFFF
	s_cmp_lt_u32 s82, s66                                      // 000000007C08: BF0A4252
	s_cselect_b32 s21, s36, s60                                // 000000007C0C: 85153C24
	s_mov_b64 exec, s[20:21]                                   // 000000007C10: BEFE0114
	global_atomic_add_f32 v6, v60, s[8:9]                      // 000000007C14: DD348000 00083C06
	s_mov_b64 exec, s[36:37]                                   // 000000007C1C: BEFE0124
	v_mov_b32_e32 v6, v49                                      // 000000007C20: 7E0C0331
	s_mov_b64 s[60:61], 0                                      // 000000007C24: BEBC0180
	v_readlane_b32 s82, v3, 6                                  // 000000007C28: D2890052 00010D03
	s_and_b32 s82, s82, 0xffffff                               // 000000007C30: 8652FF52 00FFFFFF
	s_cmp_lt_u32 s82, s66                                      // 000000007C38: BF0A4252
	s_cselect_b32 s20, s36, s60                                // 000000007C3C: 85143C24
	v_readlane_b32 s82, v3, 7                                  // 000000007C40: D2890052 00010F03
	s_and_b32 s82, s82, 0xffffff                               // 000000007C48: 8652FF52 00FFFFFF
	s_cmp_lt_u32 s82, s66                                      // 000000007C50: BF0A4252
	s_cselect_b32 s21, s36, s60                                // 000000007C54: 85153C24
	s_mov_b64 exec, s[20:21]                                   // 000000007C58: BEFE0114
	global_atomic_add_f32 v6, v61, s[8:9]                      // 000000007C5C: DD348000 00083D06
	s_mov_b64 exec, s[36:37]                                   // 000000007C64: BEFE0124
	v_mov_b32_e32 v6, v50                                      // 000000007C68: 7E0C0332
	s_mov_b64 s[60:61], 0                                      // 000000007C6C: BEBC0180
	v_readlane_b32 s82, v3, 8                                  // 000000007C70: D2890052 00011103
	s_and_b32 s82, s82, 0xffffff                               // 000000007C78: 8652FF52 00FFFFFF
	s_cmp_lt_u32 s82, s66                                      // 000000007C80: BF0A4252
	s_cselect_b32 s20, s36, s60                                // 000000007C84: 85143C24
	v_readlane_b32 s82, v3, 9                                  // 000000007C88: D2890052 00011303
	s_and_b32 s82, s82, 0xffffff                               // 000000007C90: 8652FF52 00FFFFFF
	s_cmp_lt_u32 s82, s66                                      // 000000007C98: BF0A4252
	s_cselect_b32 s21, s36, s60                                // 000000007C9C: 85153C24
	s_mov_b64 exec, s[20:21]                                   // 000000007CA0: BEFE0114
	global_atomic_add_f32 v6, v64, s[8:9]                      // 000000007CA4: DD348000 00084006
	s_mov_b64 exec, s[36:37]                                   // 000000007CAC: BEFE0124
	v_mov_b32_e32 v6, v51                                      // 000000007CB0: 7E0C0333
	s_mov_b64 s[60:61], 0                                      // 000000007CB4: BEBC0180
	v_readlane_b32 s82, v3, 10                                 // 000000007CB8: D2890052 00011503
	s_and_b32 s82, s82, 0xffffff                               // 000000007CC0: 8652FF52 00FFFFFF
	s_cmp_lt_u32 s82, s66                                      // 000000007CC8: BF0A4252
	s_cselect_b32 s20, s36, s60                                // 000000007CCC: 85143C24
	v_readlane_b32 s82, v3, 11                                 // 000000007CD0: D2890052 00011703
	s_and_b32 s82, s82, 0xffffff                               // 000000007CD8: 8652FF52 00FFFFFF
	s_cmp_lt_u32 s82, s66                                      // 000000007CE0: BF0A4252
	s_cselect_b32 s21, s36, s60                                // 000000007CE4: 85153C24
	s_mov_b64 exec, s[20:21]                                   // 000000007CE8: BEFE0114
	global_atomic_add_f32 v6, v65, s[8:9]                      // 000000007CEC: DD348000 00084106
	s_mov_b64 exec, s[36:37]                                   // 000000007CF4: BEFE0124
	v_mov_b32_e32 v6, v52                                      // 000000007CF8: 7E0C0334
	s_mov_b64 s[60:61], 0                                      // 000000007CFC: BEBC0180
	v_readlane_b32 s82, v3, 12                                 // 000000007D00: D2890052 00011903
	s_and_b32 s82, s82, 0xffffff                               // 000000007D08: 8652FF52 00FFFFFF
	s_cmp_lt_u32 s82, s66                                      // 000000007D10: BF0A4252
	s_cselect_b32 s20, s36, s60                                // 000000007D14: 85143C24
	v_readlane_b32 s82, v3, 13                                 // 000000007D18: D2890052 00011B03
	s_and_b32 s82, s82, 0xffffff                               // 000000007D20: 8652FF52 00FFFFFF
	s_cmp_lt_u32 s82, s66                                      // 000000007D28: BF0A4252
	s_cselect_b32 s21, s36, s60                                // 000000007D2C: 85153C24
	s_mov_b64 exec, s[20:21]                                   // 000000007D30: BEFE0114
	global_atomic_add_f32 v6, v68, s[8:9]                      // 000000007D34: DD348000 00084406
	s_mov_b64 exec, s[36:37]                                   // 000000007D3C: BEFE0124
	v_mov_b32_e32 v6, v53                                      // 000000007D40: 7E0C0335
	s_mov_b64 s[60:61], 0                                      // 000000007D44: BEBC0180
	v_readlane_b32 s82, v3, 14                                 // 000000007D48: D2890052 00011D03
	s_and_b32 s82, s82, 0xffffff                               // 000000007D50: 8652FF52 00FFFFFF
	s_cmp_lt_u32 s82, s66                                      // 000000007D58: BF0A4252
	s_cselect_b32 s20, s36, s60                                // 000000007D5C: 85143C24
	v_readlane_b32 s82, v3, 15                                 // 000000007D60: D2890052 00011F03
	s_and_b32 s82, s82, 0xffffff                               // 000000007D68: 8652FF52 00FFFFFF
	s_cmp_lt_u32 s82, s66                                      // 000000007D70: BF0A4252
	s_cselect_b32 s21, s36, s60                                // 000000007D74: 85153C24
	s_mov_b64 exec, s[20:21]                                   // 000000007D78: BEFE0114
	global_atomic_add_f32 v6, v69, s[8:9]                      // 000000007D7C: DD348000 00084506
	s_mov_b64 exec, s[36:37]                                   // 000000007D84: BEFE0124
	ds_write_b64 v20, v[58:59]                                 // 000000007D88: D89A0000 00003A14
	ds_write_b64 v20, v[62:63] offset:2176                     // 000000007D90: D89A0880 00003E14
	ds_write_b64 v20, v[66:67] offset:4352                     // 000000007D98: D89A1100 00004214
	ds_write_b64 v20, v[70:71] offset:6528                     // 000000007DA0: D89A1980 00004614
	s_waitcnt lgkmcnt(0)                                       // 000000007DA8: BF8CC07F
	s_barrier                                                  // 000000007DAC: BF8A0000
	ds_read_b32 v58, v21                                       // 000000007DB0: D86C0000 3A000015
	ds_read_b32 v59, v21 offset:64                             // 000000007DB8: D86C0040 3B000015
	ds_read_b32 v62, v21 offset:2176                           // 000000007DC0: D86C0880 3E000015
	ds_read_b32 v63, v21 offset:2240                           // 000000007DC8: D86C08C0 3F000015
	ds_read_b32 v66, v21 offset:4352                           // 000000007DD0: D86C1100 42000015
	ds_read_b32 v67, v21 offset:4416                           // 000000007DD8: D86C1140 43000015
	ds_read_b32 v70, v21 offset:6528                           // 000000007DE0: D86C1980 46000015
	ds_read_b32 v71, v21 offset:6592                           // 000000007DE8: D86C19C0 47000015
	s_waitcnt lgkmcnt(0)                                       // 000000007DF0: BF8CC07F
	v_mov_b32_e32 v7, 0                                        // 000000007DF4: 7E0E0280
	s_mov_b64 exec, s[36:37]                                   // 000000007DF8: BEFE0124
	v_mov_b32_e32 v6, v46                                      // 000000007DFC: 7E0C032E
	s_mov_b64 s[60:61], 0                                      // 000000007E00: BEBC0180
	v_readlane_b32 s82, v3, 0                                  // 000000007E04: D2890052 00010103
	s_and_b32 s82, s82, 0xffffff                               // 000000007E0C: 8652FF52 00FFFFFF
	s_cmp_lt_u32 s82, s66                                      // 000000007E14: BF0A4252
	s_cselect_b32 s20, s36, s60                                // 000000007E18: 85143C24
	v_readlane_b32 s82, v3, 1                                  // 000000007E1C: D2890052 00010303
	s_and_b32 s82, s82, 0xffffff                               // 000000007E24: 8652FF52 00FFFFFF
	s_cmp_lt_u32 s82, s66                                      // 000000007E2C: BF0A4252
	s_cselect_b32 s21, s36, s60                                // 000000007E30: 85153C24
	s_mov_b64 exec, s[20:21]                                   // 000000007E34: BEFE0114
	global_atomic_add_f32 v6, v58, s[8:9] offset:8             // 000000007E38: DD348008 00083A06
	s_mov_b64 exec, s[36:37]                                   // 000000007E40: BEFE0124
	v_mov_b32_e32 v6, v47                                      // 000000007E44: 7E0C032F
	s_mov_b64 s[60:61], 0                                      // 000000007E48: BEBC0180
	v_readlane_b32 s82, v3, 2                                  // 000000007E4C: D2890052 00010503
	s_and_b32 s82, s82, 0xffffff                               // 000000007E54: 8652FF52 00FFFFFF
	s_cmp_lt_u32 s82, s66                                      // 000000007E5C: BF0A4252
	s_cselect_b32 s20, s36, s60                                // 000000007E60: 85143C24
	v_readlane_b32 s82, v3, 3                                  // 000000007E64: D2890052 00010703
	s_and_b32 s82, s82, 0xffffff                               // 000000007E6C: 8652FF52 00FFFFFF
	s_cmp_lt_u32 s82, s66                                      // 000000007E74: BF0A4252
	s_cselect_b32 s21, s36, s60                                // 000000007E78: 85153C24
	s_mov_b64 exec, s[20:21]                                   // 000000007E7C: BEFE0114
	global_atomic_add_f32 v6, v59, s[8:9] offset:8             // 000000007E80: DD348008 00083B06
	s_mov_b64 exec, s[36:37]                                   // 000000007E88: BEFE0124
	v_mov_b32_e32 v6, v48                                      // 000000007E8C: 7E0C0330
	s_mov_b64 s[60:61], 0                                      // 000000007E90: BEBC0180
	v_readlane_b32 s82, v3, 4                                  // 000000007E94: D2890052 00010903
	s_and_b32 s82, s82, 0xffffff                               // 000000007E9C: 8652FF52 00FFFFFF
	s_cmp_lt_u32 s82, s66                                      // 000000007EA4: BF0A4252
	s_cselect_b32 s20, s36, s60                                // 000000007EA8: 85143C24
	v_readlane_b32 s82, v3, 5                                  // 000000007EAC: D2890052 00010B03
	s_and_b32 s82, s82, 0xffffff                               // 000000007EB4: 8652FF52 00FFFFFF
	s_cmp_lt_u32 s82, s66                                      // 000000007EBC: BF0A4252
	s_cselect_b32 s21, s36, s60                                // 000000007EC0: 85153C24
	s_mov_b64 exec, s[20:21]                                   // 000000007EC4: BEFE0114
	global_atomic_add_f32 v6, v62, s[8:9] offset:8             // 000000007EC8: DD348008 00083E06
	s_mov_b64 exec, s[36:37]                                   // 000000007ED0: BEFE0124
	v_mov_b32_e32 v6, v49                                      // 000000007ED4: 7E0C0331
	s_mov_b64 s[60:61], 0                                      // 000000007ED8: BEBC0180
	v_readlane_b32 s82, v3, 6                                  // 000000007EDC: D2890052 00010D03
	s_and_b32 s82, s82, 0xffffff                               // 000000007EE4: 8652FF52 00FFFFFF
	s_cmp_lt_u32 s82, s66                                      // 000000007EEC: BF0A4252
	s_cselect_b32 s20, s36, s60                                // 000000007EF0: 85143C24
	v_readlane_b32 s82, v3, 7                                  // 000000007EF4: D2890052 00010F03
	s_and_b32 s82, s82, 0xffffff                               // 000000007EFC: 8652FF52 00FFFFFF
	s_cmp_lt_u32 s82, s66                                      // 000000007F04: BF0A4252
	s_cselect_b32 s21, s36, s60                                // 000000007F08: 85153C24
	s_mov_b64 exec, s[20:21]                                   // 000000007F0C: BEFE0114
	global_atomic_add_f32 v6, v63, s[8:9] offset:8             // 000000007F10: DD348008 00083F06
	s_mov_b64 exec, s[36:37]                                   // 000000007F18: BEFE0124
	v_mov_b32_e32 v6, v50                                      // 000000007F1C: 7E0C0332
	s_mov_b64 s[60:61], 0                                      // 000000007F20: BEBC0180
	v_readlane_b32 s82, v3, 8                                  // 000000007F24: D2890052 00011103
	s_and_b32 s82, s82, 0xffffff                               // 000000007F2C: 8652FF52 00FFFFFF
	s_cmp_lt_u32 s82, s66                                      // 000000007F34: BF0A4252
	s_cselect_b32 s20, s36, s60                                // 000000007F38: 85143C24
	v_readlane_b32 s82, v3, 9                                  // 000000007F3C: D2890052 00011303
	s_and_b32 s82, s82, 0xffffff                               // 000000007F44: 8652FF52 00FFFFFF
	s_cmp_lt_u32 s82, s66                                      // 000000007F4C: BF0A4252
	s_cselect_b32 s21, s36, s60                                // 000000007F50: 85153C24
	s_mov_b64 exec, s[20:21]                                   // 000000007F54: BEFE0114
	global_atomic_add_f32 v6, v66, s[8:9] offset:8             // 000000007F58: DD348008 00084206
	s_mov_b64 exec, s[36:37]                                   // 000000007F60: BEFE0124
	v_mov_b32_e32 v6, v51                                      // 000000007F64: 7E0C0333
	s_mov_b64 s[60:61], 0                                      // 000000007F68: BEBC0180
	v_readlane_b32 s82, v3, 10                                 // 000000007F6C: D2890052 00011503
	s_and_b32 s82, s82, 0xffffff                               // 000000007F74: 8652FF52 00FFFFFF
	s_cmp_lt_u32 s82, s66                                      // 000000007F7C: BF0A4252
	s_cselect_b32 s20, s36, s60                                // 000000007F80: 85143C24
	v_readlane_b32 s82, v3, 11                                 // 000000007F84: D2890052 00011703
	s_and_b32 s82, s82, 0xffffff                               // 000000007F8C: 8652FF52 00FFFFFF
	s_cmp_lt_u32 s82, s66                                      // 000000007F94: BF0A4252
	s_cselect_b32 s21, s36, s60                                // 000000007F98: 85153C24
	s_mov_b64 exec, s[20:21]                                   // 000000007F9C: BEFE0114
	global_atomic_add_f32 v6, v67, s[8:9] offset:8             // 000000007FA0: DD348008 00084306
	s_mov_b64 exec, s[36:37]                                   // 000000007FA8: BEFE0124
	v_mov_b32_e32 v6, v52                                      // 000000007FAC: 7E0C0334
	s_mov_b64 s[60:61], 0                                      // 000000007FB0: BEBC0180
	v_readlane_b32 s82, v3, 12                                 // 000000007FB4: D2890052 00011903
	s_and_b32 s82, s82, 0xffffff                               // 000000007FBC: 8652FF52 00FFFFFF
	s_cmp_lt_u32 s82, s66                                      // 000000007FC4: BF0A4252
	s_cselect_b32 s20, s36, s60                                // 000000007FC8: 85143C24
	v_readlane_b32 s82, v3, 13                                 // 000000007FCC: D2890052 00011B03
	s_and_b32 s82, s82, 0xffffff                               // 000000007FD4: 8652FF52 00FFFFFF
	s_cmp_lt_u32 s82, s66                                      // 000000007FDC: BF0A4252
	s_cselect_b32 s21, s36, s60                                // 000000007FE0: 85153C24
	s_mov_b64 exec, s[20:21]                                   // 000000007FE4: BEFE0114
	global_atomic_add_f32 v6, v70, s[8:9] offset:8             // 000000007FE8: DD348008 00084606
	s_mov_b64 exec, s[36:37]                                   // 000000007FF0: BEFE0124
	v_mov_b32_e32 v6, v53                                      // 000000007FF4: 7E0C0335
	s_mov_b64 s[60:61], 0                                      // 000000007FF8: BEBC0180
	v_readlane_b32 s82, v3, 14                                 // 000000007FFC: D2890052 00011D03
	s_and_b32 s82, s82, 0xffffff                               // 000000008004: 8652FF52 00FFFFFF
	s_cmp_lt_u32 s82, s66                                      // 00000000800C: BF0A4252
	s_cselect_b32 s20, s36, s60                                // 000000008010: 85143C24
	v_readlane_b32 s82, v3, 15                                 // 000000008014: D2890052 00011F03
	s_and_b32 s82, s82, 0xffffff                               // 00000000801C: 8652FF52 00FFFFFF
	s_cmp_lt_u32 s82, s66                                      // 000000008024: BF0A4252
	s_cselect_b32 s21, s36, s60                                // 000000008028: 85153C24
	s_mov_b64 exec, s[20:21]                                   // 00000000802C: BEFE0114
	global_atomic_add_f32 v6, v71, s[8:9] offset:8             // 000000008030: DD348008 00084706
	s_mov_b64 exec, s[36:37]                                   // 000000008038: BEFE0124
	ds_write_b64 v20, v[72:73]                                 // 00000000803C: D89A0000 00004814
	ds_write_b64 v20, v[76:77] offset:2176                     // 000000008044: D89A0880 00004C14
	ds_write_b64 v20, v[80:81] offset:4352                     // 00000000804C: D89A1100 00005014
	ds_write_b64 v20, v[84:85] offset:6528                     // 000000008054: D89A1980 00005414
	s_waitcnt lgkmcnt(0)                                       // 00000000805C: BF8CC07F
	s_barrier                                                  // 000000008060: BF8A0000
	ds_read_b32 v72, v21                                       // 000000008064: D86C0000 48000015
	ds_read_b32 v73, v21 offset:64                             // 00000000806C: D86C0040 49000015
	ds_read_b32 v76, v21 offset:2176                           // 000000008074: D86C0880 4C000015
	ds_read_b32 v77, v21 offset:2240                           // 00000000807C: D86C08C0 4D000015
	ds_read_b32 v80, v21 offset:4352                           // 000000008084: D86C1100 50000015
	ds_read_b32 v81, v21 offset:4416                           // 00000000808C: D86C1140 51000015
	ds_read_b32 v84, v21 offset:6528                           // 000000008094: D86C1980 54000015
	ds_read_b32 v85, v21 offset:6592                           // 00000000809C: D86C19C0 55000015
	s_mul_i32 s60, s65, 4                                      // 0000000080A4: 923C8441
	s_add_u32 s8, s60, s8                                      // 0000000080A8: 8008083C
	s_addc_u32 s9, 0, s9                                       // 0000000080AC: 82090980
	s_waitcnt lgkmcnt(0)                                       // 0000000080B0: BF8CC07F
	v_mov_b32_e32 v7, 0                                        // 0000000080B4: 7E0E0280
	s_mov_b64 exec, s[36:37]                                   // 0000000080B8: BEFE0124
	v_mov_b32_e32 v6, v46                                      // 0000000080BC: 7E0C032E
	s_mov_b64 s[60:61], 0                                      // 0000000080C0: BEBC0180
	v_readlane_b32 s82, v3, 0                                  // 0000000080C4: D2890052 00010103
	s_and_b32 s82, s82, 0xffffff                               // 0000000080CC: 8652FF52 00FFFFFF
	s_cmp_lt_u32 s82, s66                                      // 0000000080D4: BF0A4252
	s_cselect_b32 s20, s36, s60                                // 0000000080D8: 85143C24
	v_readlane_b32 s82, v3, 1                                  // 0000000080DC: D2890052 00010303
	s_and_b32 s82, s82, 0xffffff                               // 0000000080E4: 8652FF52 00FFFFFF
	s_cmp_lt_u32 s82, s66                                      // 0000000080EC: BF0A4252
	s_cselect_b32 s21, s36, s60                                // 0000000080F0: 85153C24
	s_mov_b64 exec, s[20:21]                                   // 0000000080F4: BEFE0114
	global_atomic_add_f32 v6, v72, s[8:9]                      // 0000000080F8: DD348000 00084806
	s_mov_b64 exec, s[36:37]                                   // 000000008100: BEFE0124
	v_mov_b32_e32 v6, v47                                      // 000000008104: 7E0C032F
	s_mov_b64 s[60:61], 0                                      // 000000008108: BEBC0180
	v_readlane_b32 s82, v3, 2                                  // 00000000810C: D2890052 00010503
	s_and_b32 s82, s82, 0xffffff                               // 000000008114: 8652FF52 00FFFFFF
	s_cmp_lt_u32 s82, s66                                      // 00000000811C: BF0A4252
	s_cselect_b32 s20, s36, s60                                // 000000008120: 85143C24
	v_readlane_b32 s82, v3, 3                                  // 000000008124: D2890052 00010703
	s_and_b32 s82, s82, 0xffffff                               // 00000000812C: 8652FF52 00FFFFFF
	s_cmp_lt_u32 s82, s66                                      // 000000008134: BF0A4252
	s_cselect_b32 s21, s36, s60                                // 000000008138: 85153C24
	s_mov_b64 exec, s[20:21]                                   // 00000000813C: BEFE0114
	global_atomic_add_f32 v6, v73, s[8:9]                      // 000000008140: DD348000 00084906
	s_mov_b64 exec, s[36:37]                                   // 000000008148: BEFE0124
	v_mov_b32_e32 v6, v48                                      // 00000000814C: 7E0C0330
	s_mov_b64 s[60:61], 0                                      // 000000008150: BEBC0180
	v_readlane_b32 s82, v3, 4                                  // 000000008154: D2890052 00010903
	s_and_b32 s82, s82, 0xffffff                               // 00000000815C: 8652FF52 00FFFFFF
	s_cmp_lt_u32 s82, s66                                      // 000000008164: BF0A4252
	s_cselect_b32 s20, s36, s60                                // 000000008168: 85143C24
	v_readlane_b32 s82, v3, 5                                  // 00000000816C: D2890052 00010B03
	s_and_b32 s82, s82, 0xffffff                               // 000000008174: 8652FF52 00FFFFFF
	s_cmp_lt_u32 s82, s66                                      // 00000000817C: BF0A4252
	s_cselect_b32 s21, s36, s60                                // 000000008180: 85153C24
	s_mov_b64 exec, s[20:21]                                   // 000000008184: BEFE0114
	global_atomic_add_f32 v6, v76, s[8:9]                      // 000000008188: DD348000 00084C06
	s_mov_b64 exec, s[36:37]                                   // 000000008190: BEFE0124
	v_mov_b32_e32 v6, v49                                      // 000000008194: 7E0C0331
	s_mov_b64 s[60:61], 0                                      // 000000008198: BEBC0180
	v_readlane_b32 s82, v3, 6                                  // 00000000819C: D2890052 00010D03
	s_and_b32 s82, s82, 0xffffff                               // 0000000081A4: 8652FF52 00FFFFFF
	s_cmp_lt_u32 s82, s66                                      // 0000000081AC: BF0A4252
	s_cselect_b32 s20, s36, s60                                // 0000000081B0: 85143C24
	v_readlane_b32 s82, v3, 7                                  // 0000000081B4: D2890052 00010F03
	s_and_b32 s82, s82, 0xffffff                               // 0000000081BC: 8652FF52 00FFFFFF
	s_cmp_lt_u32 s82, s66                                      // 0000000081C4: BF0A4252
	s_cselect_b32 s21, s36, s60                                // 0000000081C8: 85153C24
	s_mov_b64 exec, s[20:21]                                   // 0000000081CC: BEFE0114
	global_atomic_add_f32 v6, v77, s[8:9]                      // 0000000081D0: DD348000 00084D06
	s_mov_b64 exec, s[36:37]                                   // 0000000081D8: BEFE0124
	v_mov_b32_e32 v6, v50                                      // 0000000081DC: 7E0C0332
	s_mov_b64 s[60:61], 0                                      // 0000000081E0: BEBC0180
	v_readlane_b32 s82, v3, 8                                  // 0000000081E4: D2890052 00011103
	s_and_b32 s82, s82, 0xffffff                               // 0000000081EC: 8652FF52 00FFFFFF
	s_cmp_lt_u32 s82, s66                                      // 0000000081F4: BF0A4252
	s_cselect_b32 s20, s36, s60                                // 0000000081F8: 85143C24
	v_readlane_b32 s82, v3, 9                                  // 0000000081FC: D2890052 00011303
	s_and_b32 s82, s82, 0xffffff                               // 000000008204: 8652FF52 00FFFFFF
	s_cmp_lt_u32 s82, s66                                      // 00000000820C: BF0A4252
	s_cselect_b32 s21, s36, s60                                // 000000008210: 85153C24
	s_mov_b64 exec, s[20:21]                                   // 000000008214: BEFE0114
	global_atomic_add_f32 v6, v80, s[8:9]                      // 000000008218: DD348000 00085006
	s_mov_b64 exec, s[36:37]                                   // 000000008220: BEFE0124
	v_mov_b32_e32 v6, v51                                      // 000000008224: 7E0C0333
	s_mov_b64 s[60:61], 0                                      // 000000008228: BEBC0180
	v_readlane_b32 s82, v3, 10                                 // 00000000822C: D2890052 00011503
	s_and_b32 s82, s82, 0xffffff                               // 000000008234: 8652FF52 00FFFFFF
	s_cmp_lt_u32 s82, s66                                      // 00000000823C: BF0A4252
	s_cselect_b32 s20, s36, s60                                // 000000008240: 85143C24
	v_readlane_b32 s82, v3, 11                                 // 000000008244: D2890052 00011703
	s_and_b32 s82, s82, 0xffffff                               // 00000000824C: 8652FF52 00FFFFFF
	s_cmp_lt_u32 s82, s66                                      // 000000008254: BF0A4252
	s_cselect_b32 s21, s36, s60                                // 000000008258: 85153C24
	s_mov_b64 exec, s[20:21]                                   // 00000000825C: BEFE0114
	global_atomic_add_f32 v6, v81, s[8:9]                      // 000000008260: DD348000 00085106
	s_mov_b64 exec, s[36:37]                                   // 000000008268: BEFE0124
	v_mov_b32_e32 v6, v52                                      // 00000000826C: 7E0C0334
	s_mov_b64 s[60:61], 0                                      // 000000008270: BEBC0180
	v_readlane_b32 s82, v3, 12                                 // 000000008274: D2890052 00011903
	s_and_b32 s82, s82, 0xffffff                               // 00000000827C: 8652FF52 00FFFFFF
	s_cmp_lt_u32 s82, s66                                      // 000000008284: BF0A4252
	s_cselect_b32 s20, s36, s60                                // 000000008288: 85143C24
	v_readlane_b32 s82, v3, 13                                 // 00000000828C: D2890052 00011B03
	s_and_b32 s82, s82, 0xffffff                               // 000000008294: 8652FF52 00FFFFFF
	s_cmp_lt_u32 s82, s66                                      // 00000000829C: BF0A4252
	s_cselect_b32 s21, s36, s60                                // 0000000082A0: 85153C24
	s_mov_b64 exec, s[20:21]                                   // 0000000082A4: BEFE0114
	global_atomic_add_f32 v6, v84, s[8:9]                      // 0000000082A8: DD348000 00085406
	s_mov_b64 exec, s[36:37]                                   // 0000000082B0: BEFE0124
	v_mov_b32_e32 v6, v53                                      // 0000000082B4: 7E0C0335
	s_mov_b64 s[60:61], 0                                      // 0000000082B8: BEBC0180
	v_readlane_b32 s82, v3, 14                                 // 0000000082BC: D2890052 00011D03
	s_and_b32 s82, s82, 0xffffff                               // 0000000082C4: 8652FF52 00FFFFFF
	s_cmp_lt_u32 s82, s66                                      // 0000000082CC: BF0A4252
	s_cselect_b32 s20, s36, s60                                // 0000000082D0: 85143C24
	v_readlane_b32 s82, v3, 15                                 // 0000000082D4: D2890052 00011F03
	s_and_b32 s82, s82, 0xffffff                               // 0000000082DC: 8652FF52 00FFFFFF
	s_cmp_lt_u32 s82, s66                                      // 0000000082E4: BF0A4252
	s_cselect_b32 s21, s36, s60                                // 0000000082E8: 85153C24
	s_mov_b64 exec, s[20:21]                                   // 0000000082EC: BEFE0114
	global_atomic_add_f32 v6, v85, s[8:9]                      // 0000000082F0: DD348000 00085506
	s_mov_b64 exec, s[36:37]                                   // 0000000082F8: BEFE0124
	ds_write_b64 v20, v[74:75]                                 // 0000000082FC: D89A0000 00004A14
	ds_write_b64 v20, v[78:79] offset:2176                     // 000000008304: D89A0880 00004E14
	ds_write_b64 v20, v[82:83] offset:4352                     // 00000000830C: D89A1100 00005214
	ds_write_b64 v20, v[86:87] offset:6528                     // 000000008314: D89A1980 00005614
	s_waitcnt lgkmcnt(0)                                       // 00000000831C: BF8CC07F
	s_barrier                                                  // 000000008320: BF8A0000
	ds_read_b32 v74, v21                                       // 000000008324: D86C0000 4A000015
	ds_read_b32 v75, v21 offset:64                             // 00000000832C: D86C0040 4B000015
	ds_read_b32 v78, v21 offset:2176                           // 000000008334: D86C0880 4E000015
	ds_read_b32 v79, v21 offset:2240                           // 00000000833C: D86C08C0 4F000015
	ds_read_b32 v82, v21 offset:4352                           // 000000008344: D86C1100 52000015
	ds_read_b32 v83, v21 offset:4416                           // 00000000834C: D86C1140 53000015
	ds_read_b32 v86, v21 offset:6528                           // 000000008354: D86C1980 56000015
	ds_read_b32 v87, v21 offset:6592                           // 00000000835C: D86C19C0 57000015
	s_waitcnt lgkmcnt(0)                                       // 000000008364: BF8CC07F
	v_mov_b32_e32 v7, 0                                        // 000000008368: 7E0E0280
	s_mov_b64 exec, s[36:37]                                   // 00000000836C: BEFE0124
	v_mov_b32_e32 v6, v46                                      // 000000008370: 7E0C032E
	s_mov_b64 s[60:61], 0                                      // 000000008374: BEBC0180
	v_readlane_b32 s82, v3, 0                                  // 000000008378: D2890052 00010103
	s_and_b32 s82, s82, 0xffffff                               // 000000008380: 8652FF52 00FFFFFF
	s_cmp_lt_u32 s82, s66                                      // 000000008388: BF0A4252
	s_cselect_b32 s20, s36, s60                                // 00000000838C: 85143C24
	v_readlane_b32 s82, v3, 1                                  // 000000008390: D2890052 00010303
	s_and_b32 s82, s82, 0xffffff                               // 000000008398: 8652FF52 00FFFFFF
	s_cmp_lt_u32 s82, s66                                      // 0000000083A0: BF0A4252
	s_cselect_b32 s21, s36, s60                                // 0000000083A4: 85153C24
	s_mov_b64 exec, s[20:21]                                   // 0000000083A8: BEFE0114
	global_atomic_add_f32 v6, v74, s[8:9] offset:8             // 0000000083AC: DD348008 00084A06
	s_mov_b64 exec, s[36:37]                                   // 0000000083B4: BEFE0124
	v_mov_b32_e32 v6, v47                                      // 0000000083B8: 7E0C032F
	s_mov_b64 s[60:61], 0                                      // 0000000083BC: BEBC0180
	v_readlane_b32 s82, v3, 2                                  // 0000000083C0: D2890052 00010503
	s_and_b32 s82, s82, 0xffffff                               // 0000000083C8: 8652FF52 00FFFFFF
	s_cmp_lt_u32 s82, s66                                      // 0000000083D0: BF0A4252
	s_cselect_b32 s20, s36, s60                                // 0000000083D4: 85143C24
	v_readlane_b32 s82, v3, 3                                  // 0000000083D8: D2890052 00010703
	s_and_b32 s82, s82, 0xffffff                               // 0000000083E0: 8652FF52 00FFFFFF
	s_cmp_lt_u32 s82, s66                                      // 0000000083E8: BF0A4252
	s_cselect_b32 s21, s36, s60                                // 0000000083EC: 85153C24
	s_mov_b64 exec, s[20:21]                                   // 0000000083F0: BEFE0114
	global_atomic_add_f32 v6, v75, s[8:9] offset:8             // 0000000083F4: DD348008 00084B06
	s_mov_b64 exec, s[36:37]                                   // 0000000083FC: BEFE0124
	v_mov_b32_e32 v6, v48                                      // 000000008400: 7E0C0330
	s_mov_b64 s[60:61], 0                                      // 000000008404: BEBC0180
	v_readlane_b32 s82, v3, 4                                  // 000000008408: D2890052 00010903
	s_and_b32 s82, s82, 0xffffff                               // 000000008410: 8652FF52 00FFFFFF
	s_cmp_lt_u32 s82, s66                                      // 000000008418: BF0A4252
	s_cselect_b32 s20, s36, s60                                // 00000000841C: 85143C24
	v_readlane_b32 s82, v3, 5                                  // 000000008420: D2890052 00010B03
	s_and_b32 s82, s82, 0xffffff                               // 000000008428: 8652FF52 00FFFFFF
	s_cmp_lt_u32 s82, s66                                      // 000000008430: BF0A4252
	s_cselect_b32 s21, s36, s60                                // 000000008434: 85153C24
	s_mov_b64 exec, s[20:21]                                   // 000000008438: BEFE0114
	global_atomic_add_f32 v6, v78, s[8:9] offset:8             // 00000000843C: DD348008 00084E06
	s_mov_b64 exec, s[36:37]                                   // 000000008444: BEFE0124
	v_mov_b32_e32 v6, v49                                      // 000000008448: 7E0C0331
	s_mov_b64 s[60:61], 0                                      // 00000000844C: BEBC0180
	v_readlane_b32 s82, v3, 6                                  // 000000008450: D2890052 00010D03
	s_and_b32 s82, s82, 0xffffff                               // 000000008458: 8652FF52 00FFFFFF
	s_cmp_lt_u32 s82, s66                                      // 000000008460: BF0A4252
	s_cselect_b32 s20, s36, s60                                // 000000008464: 85143C24
	v_readlane_b32 s82, v3, 7                                  // 000000008468: D2890052 00010F03
	s_and_b32 s82, s82, 0xffffff                               // 000000008470: 8652FF52 00FFFFFF
	s_cmp_lt_u32 s82, s66                                      // 000000008478: BF0A4252
	s_cselect_b32 s21, s36, s60                                // 00000000847C: 85153C24
	s_mov_b64 exec, s[20:21]                                   // 000000008480: BEFE0114
	global_atomic_add_f32 v6, v79, s[8:9] offset:8             // 000000008484: DD348008 00084F06
	s_mov_b64 exec, s[36:37]                                   // 00000000848C: BEFE0124
	v_mov_b32_e32 v6, v50                                      // 000000008490: 7E0C0332
	s_mov_b64 s[60:61], 0                                      // 000000008494: BEBC0180
	v_readlane_b32 s82, v3, 8                                  // 000000008498: D2890052 00011103
	s_and_b32 s82, s82, 0xffffff                               // 0000000084A0: 8652FF52 00FFFFFF
	s_cmp_lt_u32 s82, s66                                      // 0000000084A8: BF0A4252
	s_cselect_b32 s20, s36, s60                                // 0000000084AC: 85143C24
	v_readlane_b32 s82, v3, 9                                  // 0000000084B0: D2890052 00011303
	s_and_b32 s82, s82, 0xffffff                               // 0000000084B8: 8652FF52 00FFFFFF
	s_cmp_lt_u32 s82, s66                                      // 0000000084C0: BF0A4252
	s_cselect_b32 s21, s36, s60                                // 0000000084C4: 85153C24
	s_mov_b64 exec, s[20:21]                                   // 0000000084C8: BEFE0114
	global_atomic_add_f32 v6, v82, s[8:9] offset:8             // 0000000084CC: DD348008 00085206
	s_mov_b64 exec, s[36:37]                                   // 0000000084D4: BEFE0124
	v_mov_b32_e32 v6, v51                                      // 0000000084D8: 7E0C0333
	s_mov_b64 s[60:61], 0                                      // 0000000084DC: BEBC0180
	v_readlane_b32 s82, v3, 10                                 // 0000000084E0: D2890052 00011503
	s_and_b32 s82, s82, 0xffffff                               // 0000000084E8: 8652FF52 00FFFFFF
	s_cmp_lt_u32 s82, s66                                      // 0000000084F0: BF0A4252
	s_cselect_b32 s20, s36, s60                                // 0000000084F4: 85143C24
	v_readlane_b32 s82, v3, 11                                 // 0000000084F8: D2890052 00011703
	s_and_b32 s82, s82, 0xffffff                               // 000000008500: 8652FF52 00FFFFFF
	s_cmp_lt_u32 s82, s66                                      // 000000008508: BF0A4252
	s_cselect_b32 s21, s36, s60                                // 00000000850C: 85153C24
	s_mov_b64 exec, s[20:21]                                   // 000000008510: BEFE0114
	global_atomic_add_f32 v6, v83, s[8:9] offset:8             // 000000008514: DD348008 00085306
	s_mov_b64 exec, s[36:37]                                   // 00000000851C: BEFE0124
	v_mov_b32_e32 v6, v52                                      // 000000008520: 7E0C0334
	s_mov_b64 s[60:61], 0                                      // 000000008524: BEBC0180
	v_readlane_b32 s82, v3, 12                                 // 000000008528: D2890052 00011903
	s_and_b32 s82, s82, 0xffffff                               // 000000008530: 8652FF52 00FFFFFF
	s_cmp_lt_u32 s82, s66                                      // 000000008538: BF0A4252
	s_cselect_b32 s20, s36, s60                                // 00000000853C: 85143C24
	v_readlane_b32 s82, v3, 13                                 // 000000008540: D2890052 00011B03
	s_and_b32 s82, s82, 0xffffff                               // 000000008548: 8652FF52 00FFFFFF
	s_cmp_lt_u32 s82, s66                                      // 000000008550: BF0A4252
	s_cselect_b32 s21, s36, s60                                // 000000008554: 85153C24
	s_mov_b64 exec, s[20:21]                                   // 000000008558: BEFE0114
	global_atomic_add_f32 v6, v86, s[8:9] offset:8             // 00000000855C: DD348008 00085606
	s_mov_b64 exec, s[36:37]                                   // 000000008564: BEFE0124
	v_mov_b32_e32 v6, v53                                      // 000000008568: 7E0C0335
	s_mov_b64 s[60:61], 0                                      // 00000000856C: BEBC0180
	v_readlane_b32 s82, v3, 14                                 // 000000008570: D2890052 00011D03
	s_and_b32 s82, s82, 0xffffff                               // 000000008578: 8652FF52 00FFFFFF
	s_cmp_lt_u32 s82, s66                                      // 000000008580: BF0A4252
	s_cselect_b32 s20, s36, s60                                // 000000008584: 85143C24
	v_readlane_b32 s82, v3, 15                                 // 000000008588: D2890052 00011F03
	s_and_b32 s82, s82, 0xffffff                               // 000000008590: 8652FF52 00FFFFFF
	s_cmp_lt_u32 s82, s66                                      // 000000008598: BF0A4252
	s_cselect_b32 s21, s36, s60                                // 00000000859C: 85153C24
	s_mov_b64 exec, s[20:21]                                   // 0000000085A0: BEFE0114
	global_atomic_add_f32 v6, v87, s[8:9] offset:8             // 0000000085A4: DD348008 00085706
	s_mov_b64 exec, s[36:37]                                   // 0000000085AC: BEFE0124
	s_branch label_16F0                                        // 0000000085B0: BF820000

00000000000085b4 <label_16F0>:
	s_waitcnt vmcnt(0) expcnt(0) lgkmcnt(0)                    // 0000000085B4: BF8C0000
	s_endpgm                                                   // 0000000085B8: BF810000
